;; amdgpu-corpus repo=ROCm/rocFFT kind=compiled arch=gfx1201 opt=O3
	.text
	.amdgcn_target "amdgcn-amd-amdhsa--gfx1201"
	.amdhsa_code_object_version 6
	.protected	fft_rtc_fwd_len150_factors_10_5_3_wgs_60_tpt_5_halfLds_dp_ip_CI_unitstride_sbrr_dirReg ; -- Begin function fft_rtc_fwd_len150_factors_10_5_3_wgs_60_tpt_5_halfLds_dp_ip_CI_unitstride_sbrr_dirReg
	.globl	fft_rtc_fwd_len150_factors_10_5_3_wgs_60_tpt_5_halfLds_dp_ip_CI_unitstride_sbrr_dirReg
	.p2align	8
	.type	fft_rtc_fwd_len150_factors_10_5_3_wgs_60_tpt_5_halfLds_dp_ip_CI_unitstride_sbrr_dirReg,@function
fft_rtc_fwd_len150_factors_10_5_3_wgs_60_tpt_5_halfLds_dp_ip_CI_unitstride_sbrr_dirReg: ; @fft_rtc_fwd_len150_factors_10_5_3_wgs_60_tpt_5_halfLds_dp_ip_CI_unitstride_sbrr_dirReg
; %bb.0:
	s_load_b128 s[4:7], s[0:1], 0x0
	v_mul_u32_u24_e32 v1, 0x3334, v0
	s_clause 0x1
	s_load_b64 s[8:9], s[0:1], 0x50
	s_load_b64 s[10:11], s[0:1], 0x18
	v_mov_b32_e32 v3, 0
	v_lshrrev_b32_e32 v1, 16, v1
	s_delay_alu instid0(VALU_DEP_1) | instskip(SKIP_1) | instid1(VALU_DEP_4)
	v_mad_co_u64_u32 v[124:125], null, ttmp9, 12, v[1:2]
	v_mov_b32_e32 v1, 0
	v_dual_mov_b32 v2, 0 :: v_dual_mov_b32 v125, v3
	s_delay_alu instid0(VALU_DEP_1) | instskip(SKIP_2) | instid1(VALU_DEP_1)
	v_dual_mov_b32 v7, v124 :: v_dual_mov_b32 v8, v125
	s_wait_kmcnt 0x0
	v_cmp_lt_u64_e64 s2, s[6:7], 2
	s_and_b32 vcc_lo, exec_lo, s2
	s_cbranch_vccnz .LBB0_8
; %bb.1:
	s_load_b64 s[2:3], s[0:1], 0x10
	v_mov_b32_e32 v1, 0
	v_dual_mov_b32 v2, 0 :: v_dual_mov_b32 v5, v124
	v_mov_b32_e32 v6, v125
	s_add_nc_u64 s[12:13], s[10:11], 8
	s_mov_b64 s[14:15], 1
	s_wait_kmcnt 0x0
	s_add_nc_u64 s[16:17], s[2:3], 8
	s_mov_b32 s3, 0
.LBB0_2:                                ; =>This Inner Loop Header: Depth=1
	s_load_b64 s[18:19], s[16:17], 0x0
                                        ; implicit-def: $vgpr7_vgpr8
	s_mov_b32 s2, exec_lo
	s_wait_kmcnt 0x0
	v_or_b32_e32 v4, s19, v6
	s_delay_alu instid0(VALU_DEP_1)
	v_cmpx_ne_u64_e32 0, v[3:4]
	s_wait_alu 0xfffe
	s_xor_b32 s20, exec_lo, s2
	s_cbranch_execz .LBB0_4
; %bb.3:                                ;   in Loop: Header=BB0_2 Depth=1
	s_cvt_f32_u32 s2, s18
	s_cvt_f32_u32 s21, s19
	s_sub_nc_u64 s[24:25], 0, s[18:19]
	s_wait_alu 0xfffe
	s_delay_alu instid0(SALU_CYCLE_1) | instskip(SKIP_1) | instid1(SALU_CYCLE_2)
	s_fmamk_f32 s2, s21, 0x4f800000, s2
	s_wait_alu 0xfffe
	v_s_rcp_f32 s2, s2
	s_delay_alu instid0(TRANS32_DEP_1) | instskip(SKIP_1) | instid1(SALU_CYCLE_2)
	s_mul_f32 s2, s2, 0x5f7ffffc
	s_wait_alu 0xfffe
	s_mul_f32 s21, s2, 0x2f800000
	s_wait_alu 0xfffe
	s_delay_alu instid0(SALU_CYCLE_2) | instskip(SKIP_1) | instid1(SALU_CYCLE_2)
	s_trunc_f32 s21, s21
	s_wait_alu 0xfffe
	s_fmamk_f32 s2, s21, 0xcf800000, s2
	s_cvt_u32_f32 s23, s21
	s_wait_alu 0xfffe
	s_delay_alu instid0(SALU_CYCLE_1) | instskip(SKIP_1) | instid1(SALU_CYCLE_2)
	s_cvt_u32_f32 s22, s2
	s_wait_alu 0xfffe
	s_mul_u64 s[26:27], s[24:25], s[22:23]
	s_wait_alu 0xfffe
	s_mul_hi_u32 s29, s22, s27
	s_mul_i32 s28, s22, s27
	s_mul_hi_u32 s2, s22, s26
	s_mul_i32 s30, s23, s26
	s_wait_alu 0xfffe
	s_add_nc_u64 s[28:29], s[2:3], s[28:29]
	s_mul_hi_u32 s21, s23, s26
	s_mul_hi_u32 s31, s23, s27
	s_add_co_u32 s2, s28, s30
	s_wait_alu 0xfffe
	s_add_co_ci_u32 s2, s29, s21
	s_mul_i32 s26, s23, s27
	s_add_co_ci_u32 s27, s31, 0
	s_wait_alu 0xfffe
	s_add_nc_u64 s[26:27], s[2:3], s[26:27]
	s_wait_alu 0xfffe
	v_add_co_u32 v4, s2, s22, s26
	s_delay_alu instid0(VALU_DEP_1) | instskip(SKIP_1) | instid1(VALU_DEP_1)
	s_cmp_lg_u32 s2, 0
	s_add_co_ci_u32 s23, s23, s27
	v_readfirstlane_b32 s22, v4
	s_wait_alu 0xfffe
	s_delay_alu instid0(VALU_DEP_1)
	s_mul_u64 s[24:25], s[24:25], s[22:23]
	s_wait_alu 0xfffe
	s_mul_hi_u32 s27, s22, s25
	s_mul_i32 s26, s22, s25
	s_mul_hi_u32 s2, s22, s24
	s_mul_i32 s28, s23, s24
	s_wait_alu 0xfffe
	s_add_nc_u64 s[26:27], s[2:3], s[26:27]
	s_mul_hi_u32 s21, s23, s24
	s_mul_hi_u32 s22, s23, s25
	s_wait_alu 0xfffe
	s_add_co_u32 s2, s26, s28
	s_add_co_ci_u32 s2, s27, s21
	s_mul_i32 s24, s23, s25
	s_add_co_ci_u32 s25, s22, 0
	s_wait_alu 0xfffe
	s_add_nc_u64 s[24:25], s[2:3], s[24:25]
	s_wait_alu 0xfffe
	v_add_co_u32 v4, s2, v4, s24
	s_delay_alu instid0(VALU_DEP_1) | instskip(SKIP_1) | instid1(VALU_DEP_1)
	s_cmp_lg_u32 s2, 0
	s_add_co_ci_u32 s2, s23, s25
	v_mul_hi_u32 v13, v5, v4
	s_wait_alu 0xfffe
	v_mad_co_u64_u32 v[7:8], null, v5, s2, 0
	v_mad_co_u64_u32 v[9:10], null, v6, v4, 0
	;; [unrolled: 1-line block ×3, first 2 shown]
	s_delay_alu instid0(VALU_DEP_3) | instskip(SKIP_1) | instid1(VALU_DEP_4)
	v_add_co_u32 v4, vcc_lo, v13, v7
	s_wait_alu 0xfffd
	v_add_co_ci_u32_e32 v7, vcc_lo, 0, v8, vcc_lo
	s_delay_alu instid0(VALU_DEP_2) | instskip(SKIP_1) | instid1(VALU_DEP_2)
	v_add_co_u32 v4, vcc_lo, v4, v9
	s_wait_alu 0xfffd
	v_add_co_ci_u32_e32 v4, vcc_lo, v7, v10, vcc_lo
	s_wait_alu 0xfffd
	v_add_co_ci_u32_e32 v7, vcc_lo, 0, v12, vcc_lo
	s_delay_alu instid0(VALU_DEP_2) | instskip(SKIP_1) | instid1(VALU_DEP_2)
	v_add_co_u32 v4, vcc_lo, v4, v11
	s_wait_alu 0xfffd
	v_add_co_ci_u32_e32 v9, vcc_lo, 0, v7, vcc_lo
	s_delay_alu instid0(VALU_DEP_2) | instskip(SKIP_1) | instid1(VALU_DEP_3)
	v_mul_lo_u32 v10, s19, v4
	v_mad_co_u64_u32 v[7:8], null, s18, v4, 0
	v_mul_lo_u32 v11, s18, v9
	s_delay_alu instid0(VALU_DEP_2) | instskip(NEXT) | instid1(VALU_DEP_2)
	v_sub_co_u32 v7, vcc_lo, v5, v7
	v_add3_u32 v8, v8, v11, v10
	s_delay_alu instid0(VALU_DEP_1) | instskip(SKIP_1) | instid1(VALU_DEP_1)
	v_sub_nc_u32_e32 v10, v6, v8
	s_wait_alu 0xfffd
	v_subrev_co_ci_u32_e64 v10, s2, s19, v10, vcc_lo
	v_add_co_u32 v11, s2, v4, 2
	s_wait_alu 0xf1ff
	v_add_co_ci_u32_e64 v12, s2, 0, v9, s2
	v_sub_co_u32 v13, s2, v7, s18
	v_sub_co_ci_u32_e32 v8, vcc_lo, v6, v8, vcc_lo
	s_wait_alu 0xf1ff
	v_subrev_co_ci_u32_e64 v10, s2, 0, v10, s2
	s_delay_alu instid0(VALU_DEP_3) | instskip(NEXT) | instid1(VALU_DEP_3)
	v_cmp_le_u32_e32 vcc_lo, s18, v13
	v_cmp_eq_u32_e64 s2, s19, v8
	s_wait_alu 0xfffd
	v_cndmask_b32_e64 v13, 0, -1, vcc_lo
	v_cmp_le_u32_e32 vcc_lo, s19, v10
	s_wait_alu 0xfffd
	v_cndmask_b32_e64 v14, 0, -1, vcc_lo
	v_cmp_le_u32_e32 vcc_lo, s18, v7
	;; [unrolled: 3-line block ×3, first 2 shown]
	s_wait_alu 0xfffd
	v_cndmask_b32_e64 v15, 0, -1, vcc_lo
	v_cmp_eq_u32_e32 vcc_lo, s19, v10
	s_wait_alu 0xf1ff
	s_delay_alu instid0(VALU_DEP_2)
	v_cndmask_b32_e64 v7, v15, v7, s2
	s_wait_alu 0xfffd
	v_cndmask_b32_e32 v10, v14, v13, vcc_lo
	v_add_co_u32 v13, vcc_lo, v4, 1
	s_wait_alu 0xfffd
	v_add_co_ci_u32_e32 v14, vcc_lo, 0, v9, vcc_lo
	s_delay_alu instid0(VALU_DEP_3) | instskip(SKIP_2) | instid1(VALU_DEP_3)
	v_cmp_ne_u32_e32 vcc_lo, 0, v10
	s_wait_alu 0xfffd
	v_cndmask_b32_e32 v10, v13, v11, vcc_lo
	v_cndmask_b32_e32 v8, v14, v12, vcc_lo
	v_cmp_ne_u32_e32 vcc_lo, 0, v7
	s_wait_alu 0xfffd
	s_delay_alu instid0(VALU_DEP_2)
	v_dual_cndmask_b32 v7, v4, v10 :: v_dual_cndmask_b32 v8, v9, v8
.LBB0_4:                                ;   in Loop: Header=BB0_2 Depth=1
	s_wait_alu 0xfffe
	s_and_not1_saveexec_b32 s2, s20
	s_cbranch_execz .LBB0_6
; %bb.5:                                ;   in Loop: Header=BB0_2 Depth=1
	v_cvt_f32_u32_e32 v4, s18
	s_sub_co_i32 s20, 0, s18
	s_delay_alu instid0(VALU_DEP_1) | instskip(NEXT) | instid1(TRANS32_DEP_1)
	v_rcp_iflag_f32_e32 v4, v4
	v_mul_f32_e32 v4, 0x4f7ffffe, v4
	s_delay_alu instid0(VALU_DEP_1) | instskip(SKIP_1) | instid1(VALU_DEP_1)
	v_cvt_u32_f32_e32 v4, v4
	s_wait_alu 0xfffe
	v_mul_lo_u32 v7, s20, v4
	s_delay_alu instid0(VALU_DEP_1) | instskip(NEXT) | instid1(VALU_DEP_1)
	v_mul_hi_u32 v7, v4, v7
	v_add_nc_u32_e32 v4, v4, v7
	s_delay_alu instid0(VALU_DEP_1) | instskip(NEXT) | instid1(VALU_DEP_1)
	v_mul_hi_u32 v4, v5, v4
	v_mul_lo_u32 v7, v4, s18
	v_add_nc_u32_e32 v8, 1, v4
	s_delay_alu instid0(VALU_DEP_2) | instskip(NEXT) | instid1(VALU_DEP_1)
	v_sub_nc_u32_e32 v7, v5, v7
	v_subrev_nc_u32_e32 v9, s18, v7
	v_cmp_le_u32_e32 vcc_lo, s18, v7
	s_wait_alu 0xfffd
	s_delay_alu instid0(VALU_DEP_2) | instskip(NEXT) | instid1(VALU_DEP_1)
	v_dual_cndmask_b32 v7, v7, v9 :: v_dual_cndmask_b32 v4, v4, v8
	v_cmp_le_u32_e32 vcc_lo, s18, v7
	s_delay_alu instid0(VALU_DEP_2) | instskip(SKIP_1) | instid1(VALU_DEP_1)
	v_add_nc_u32_e32 v8, 1, v4
	s_wait_alu 0xfffd
	v_dual_cndmask_b32 v7, v4, v8 :: v_dual_mov_b32 v8, v3
.LBB0_6:                                ;   in Loop: Header=BB0_2 Depth=1
	s_wait_alu 0xfffe
	s_or_b32 exec_lo, exec_lo, s2
	s_load_b64 s[20:21], s[12:13], 0x0
	s_delay_alu instid0(VALU_DEP_1)
	v_mul_lo_u32 v4, v8, s18
	v_mul_lo_u32 v11, v7, s19
	v_mad_co_u64_u32 v[9:10], null, v7, s18, 0
	s_add_nc_u64 s[14:15], s[14:15], 1
	s_add_nc_u64 s[12:13], s[12:13], 8
	s_wait_alu 0xfffe
	v_cmp_ge_u64_e64 s2, s[14:15], s[6:7]
	s_add_nc_u64 s[16:17], s[16:17], 8
	s_delay_alu instid0(VALU_DEP_2) | instskip(NEXT) | instid1(VALU_DEP_3)
	v_add3_u32 v4, v10, v11, v4
	v_sub_co_u32 v5, vcc_lo, v5, v9
	s_wait_alu 0xfffd
	s_delay_alu instid0(VALU_DEP_2) | instskip(SKIP_3) | instid1(VALU_DEP_2)
	v_sub_co_ci_u32_e32 v4, vcc_lo, v6, v4, vcc_lo
	s_and_b32 vcc_lo, exec_lo, s2
	s_wait_kmcnt 0x0
	v_mul_lo_u32 v6, s21, v5
	v_mul_lo_u32 v4, s20, v4
	v_mad_co_u64_u32 v[1:2], null, s20, v5, v[1:2]
	s_delay_alu instid0(VALU_DEP_1)
	v_add3_u32 v2, v6, v2, v4
	s_wait_alu 0xfffe
	s_cbranch_vccnz .LBB0_8
; %bb.7:                                ;   in Loop: Header=BB0_2 Depth=1
	v_dual_mov_b32 v5, v7 :: v_dual_mov_b32 v6, v8
	s_branch .LBB0_2
.LBB0_8:
	s_lshl_b64 s[2:3], s[6:7], 3
	v_mul_hi_u32 v3, 0x33333334, v0
	s_wait_alu 0xfffe
	s_add_nc_u64 s[2:3], s[10:11], s[2:3]
	s_load_b64 s[2:3], s[2:3], 0x0
	s_load_b64 s[0:1], s[0:1], 0x20
	s_delay_alu instid0(VALU_DEP_1) | instskip(NEXT) | instid1(VALU_DEP_1)
	v_mul_u32_u24_e32 v3, 5, v3
	v_sub_nc_u32_e32 v120, v0, v3
	s_delay_alu instid0(VALU_DEP_1)
	v_or_b32_e32 v125, 40, v120
	v_or_b32_e32 v126, 0x50, v120
	s_wait_kmcnt 0x0
	v_mul_lo_u32 v4, s2, v8
	v_mul_lo_u32 v5, s3, v7
	v_mad_co_u64_u32 v[1:2], null, s2, v7, v[1:2]
	v_cmp_gt_u64_e32 vcc_lo, s[0:1], v[7:8]
	v_cmp_le_u64_e64 s0, s[0:1], v[7:8]
	s_delay_alu instid0(VALU_DEP_3) | instskip(NEXT) | instid1(VALU_DEP_2)
	v_add3_u32 v2, v5, v2, v4
	s_and_saveexec_b32 s1, s0
	s_wait_alu 0xfffe
	s_xor_b32 s0, exec_lo, s1
; %bb.9:
	v_or_b32_e32 v125, 40, v120
	v_or_b32_e32 v126, 0x50, v120
; %bb.10:
	s_wait_alu 0xfffe
	s_or_saveexec_b32 s1, s0
	v_lshlrev_b64_e32 v[122:123], 4, v[1:2]
                                        ; implicit-def: $vgpr2_vgpr3
                                        ; implicit-def: $vgpr34_vgpr35
                                        ; implicit-def: $vgpr6_vgpr7
                                        ; implicit-def: $vgpr46_vgpr47
                                        ; implicit-def: $vgpr18_vgpr19
                                        ; implicit-def: $vgpr78_vgpr79
                                        ; implicit-def: $vgpr22_vgpr23
                                        ; implicit-def: $vgpr42_vgpr43
                                        ; implicit-def: $vgpr14_vgpr15
                                        ; implicit-def: $vgpr10_vgpr11
                                        ; implicit-def: $vgpr38_vgpr39
                                        ; implicit-def: $vgpr26_vgpr27
                                        ; implicit-def: $vgpr94_vgpr95
                                        ; implicit-def: $vgpr58_vgpr59
                                        ; implicit-def: $vgpr102_vgpr103
                                        ; implicit-def: $vgpr74_vgpr75
                                        ; implicit-def: $vgpr98_vgpr99
                                        ; implicit-def: $vgpr82_vgpr83
                                        ; implicit-def: $vgpr70_vgpr71
                                        ; implicit-def: $vgpr62_vgpr63
                                        ; implicit-def: $vgpr54_vgpr55
                                        ; implicit-def: $vgpr30_vgpr31
                                        ; implicit-def: $vgpr106_vgpr107
                                        ; implicit-def: $vgpr66_vgpr67
                                        ; implicit-def: $vgpr110_vgpr111
                                        ; implicit-def: $vgpr90_vgpr91
                                        ; implicit-def: $vgpr118_vgpr119
                                        ; implicit-def: $vgpr86_vgpr87
                                        ; implicit-def: $vgpr114_vgpr115
                                        ; implicit-def: $vgpr50_vgpr51
	s_wait_alu 0xfffe
	s_xor_b32 exec_lo, exec_lo, s1
; %bb.11:
	v_mov_b32_e32 v121, 0
	s_delay_alu instid0(VALU_DEP_2) | instskip(SKIP_2) | instid1(VALU_DEP_3)
	v_add_co_u32 v2, s0, s8, v122
	s_wait_alu 0xf1ff
	v_add_co_ci_u32_e64 v3, s0, s9, v123, s0
	v_lshlrev_b64_e32 v[0:1], 4, v[120:121]
	s_delay_alu instid0(VALU_DEP_1) | instskip(SKIP_1) | instid1(VALU_DEP_2)
	v_add_co_u32 v0, s0, v2, v0
	s_wait_alu 0xf1ff
	v_add_co_ci_u32_e64 v1, s0, v3, v1, s0
	s_clause 0x1d
	global_load_b128 v[48:51], v[0:1], off
	global_load_b128 v[60:63], v[0:1], off offset:80
	global_load_b128 v[84:87], v[0:1], off offset:480
	global_load_b128 v[80:83], v[0:1], off offset:560
	global_load_b128 v[88:91], v[0:1], off offset:960
	global_load_b128 v[72:75], v[0:1], off offset:1040
	global_load_b128 v[64:67], v[0:1], off offset:1440
	global_load_b128 v[56:59], v[0:1], off offset:1520
	global_load_b128 v[28:31], v[0:1], off offset:1920
	global_load_b128 v[24:27], v[0:1], off offset:2000
	global_load_b128 v[112:115], v[0:1], off offset:240
	global_load_b128 v[8:11], v[0:1], off offset:160
	global_load_b128 v[68:71], v[0:1], off offset:320
	global_load_b128 v[12:15], v[0:1], off offset:400
	global_load_b128 v[116:119], v[0:1], off offset:720
	global_load_b128 v[40:43], v[0:1], off offset:640
	global_load_b128 v[96:99], v[0:1], off offset:800
	global_load_b128 v[20:23], v[0:1], off offset:880
	global_load_b128 v[108:111], v[0:1], off offset:1200
	global_load_b128 v[76:79], v[0:1], off offset:1120
	global_load_b128 v[100:103], v[0:1], off offset:1280
	global_load_b128 v[16:19], v[0:1], off offset:1360
	global_load_b128 v[104:107], v[0:1], off offset:1680
	global_load_b128 v[44:47], v[0:1], off offset:1600
	global_load_b128 v[92:95], v[0:1], off offset:1760
	global_load_b128 v[4:7], v[0:1], off offset:1840
	global_load_b128 v[52:55], v[0:1], off offset:2160
	global_load_b128 v[32:35], v[0:1], off offset:2080
	global_load_b128 v[36:39], v[0:1], off offset:2240
	global_load_b128 v[0:3], v[0:1], off offset:2320
; %bb.12:
	s_or_b32 exec_lo, exec_lo, s1
	s_wait_loadcnt 0x3
	v_add_f64_e32 v[129:130], v[52:53], v[116:117]
	v_add_f64_e32 v[127:128], v[104:105], v[108:109]
	v_add_f64_e32 v[131:132], v[106:107], v[110:111]
	v_add_f64_e32 v[133:134], v[54:55], v[118:119]
	v_add_f64_e64 v[137:138], v[110:111], -v[106:107]
	v_add_f64_e64 v[135:136], v[118:119], -v[54:55]
	s_mov_b32 s2, 0x134454ff
	s_mov_b32 s3, 0x3fee6f0e
	;; [unrolled: 1-line block ×3, first 2 shown]
	s_wait_alu 0xfffe
	s_mov_b32 s6, s2
	v_add_f64_e32 v[139:140], v[84:85], v[48:49]
	v_add_f64_e32 v[141:142], v[86:87], v[50:51]
	;; [unrolled: 1-line block ×6, first 2 shown]
	v_add_f64_e64 v[169:170], v[116:117], -v[108:109]
	v_add_f64_e64 v[171:172], v[108:109], -v[116:117]
	;; [unrolled: 1-line block ×6, first 2 shown]
	s_mov_b32 s10, 0x4755a5e
	s_mov_b32 s11, 0x3fe2cf23
	s_mov_b32 s13, 0xbfe2cf23
	s_mov_b32 s12, s10
	v_add_f64_e32 v[149:150], v[82:83], v[62:63]
	v_add_f64_e32 v[155:156], v[66:67], v[90:91]
	;; [unrolled: 1-line block ×3, first 2 shown]
	v_add_f64_e64 v[159:160], v[86:87], -v[30:31]
	v_add_f64_e64 v[161:162], v[84:85], -v[88:89]
	;; [unrolled: 1-line block ×8, first 2 shown]
	v_add_f64_e32 v[147:148], v[80:81], v[60:61]
	v_fma_f64 v[129:130], v[129:130], -0.5, v[112:113]
	v_fma_f64 v[127:128], v[127:128], -0.5, v[112:113]
	;; [unrolled: 1-line block ×4, first 2 shown]
	v_add_f64_e64 v[112:113], v[86:87], -v[90:91]
	v_add_f64_e64 v[86:87], v[90:91], -v[86:87]
	v_add_f64_e32 v[179:180], v[58:59], v[74:75]
	v_add_f64_e32 v[183:184], v[26:27], v[82:83]
	v_add_f64_e64 v[199:200], v[54:55], -v[106:107]
	s_mov_b32 s14, 0x372fe950
	v_add_f64_e32 v[88:89], v[88:89], v[139:140]
	v_add_f64_e32 v[90:91], v[90:91], v[141:142]
	s_mov_b32 s15, 0x3fd3c6ef
	v_add_f64_e32 v[165:166], v[56:57], v[72:73]
	v_fma_f64 v[139:140], v[151:152], -0.5, v[48:49]
	v_fma_f64 v[48:49], v[153:154], -0.5, v[48:49]
	v_add_f64_e32 v[167:168], v[24:25], v[80:81]
	v_add_f64_e64 v[191:192], v[64:65], -v[28:29]
	v_add_f64_e64 v[209:210], v[82:83], -v[74:75]
	;; [unrolled: 1-line block ×3, first 2 shown]
	v_add_f64_e32 v[151:152], v[175:176], v[169:170]
	v_add_f64_e32 v[153:154], v[177:178], v[171:172]
	v_add_f64_e64 v[213:214], v[74:75], -v[58:59]
	v_add_f64_e32 v[108:109], v[108:109], v[143:144]
	v_add_f64_e64 v[189:190], v[28:29], -v[64:65]
	v_add_f64_e64 v[203:204], v[82:83], -v[26:27]
	v_add_f64_e32 v[74:75], v[74:75], v[149:150]
	v_add_f64_e32 v[149:150], v[98:99], v[70:71]
	v_add_f64_e64 v[205:206], v[80:81], -v[72:73]
	v_add_f64_e64 v[207:208], v[72:73], -v[80:81]
	;; [unrolled: 1-line block ×5, first 2 shown]
	s_mov_b32 s0, 0x9b97f4a8
	s_mov_b32 s1, 0x3fe9e377
	v_add_f64_e32 v[110:111], v[110:111], v[145:146]
	v_add_f64_e32 v[118:119], v[201:202], v[118:119]
	;; [unrolled: 1-line block ×3, first 2 shown]
	s_wait_alu 0xfffe
	v_fma_f64 v[181:182], v[137:138], s[6:7], v[129:130]
	v_fma_f64 v[129:130], v[137:138], s[2:3], v[129:130]
	;; [unrolled: 1-line block ×8, first 2 shown]
	v_add_f64_e32 v[147:148], v[96:97], v[68:69]
	v_fma_f64 v[179:180], v[179:180], -0.5, v[62:63]
	v_fma_f64 v[62:63], v[183:184], -0.5, v[62:63]
	v_add_f64_e32 v[183:184], v[199:200], v[197:198]
	v_add_f64_e32 v[197:198], v[42:43], v[10:11]
	v_add_f64_e32 v[64:65], v[64:65], v[88:89]
	v_fma_f64 v[199:200], v[159:160], s[2:3], v[139:140]
	v_fma_f64 v[139:140], v[159:160], s[6:7], v[139:140]
	v_add_f64_e32 v[66:67], v[66:67], v[90:91]
	v_add_f64_e32 v[145:146], v[92:93], v[100:101]
	v_fma_f64 v[155:156], v[155:156], -0.5, v[50:51]
	v_fma_f64 v[157:158], v[157:158], -0.5, v[50:51]
	s_wait_loadcnt 0x1
	v_add_f64_e32 v[50:51], v[36:37], v[96:97]
	v_add_f64_e32 v[177:178], v[94:95], v[102:103]
	v_fma_f64 v[165:166], v[165:166], -0.5, v[60:61]
	v_fma_f64 v[167:168], v[167:168], -0.5, v[60:61]
	v_add_f64_e32 v[60:61], v[38:39], v[98:99]
	v_add_f64_e64 v[88:89], v[96:97], -v[36:37]
	v_add_f64_e64 v[90:91], v[98:99], -v[102:103]
	v_add_f64_e32 v[104:105], v[104:105], v[108:109]
	v_add_f64_e32 v[163:164], v[191:192], v[163:164]
	v_add_f64_e64 v[175:176], v[24:25], -v[56:57]
	v_add_f64_e64 v[143:144], v[58:59], -v[26:27]
	v_add_f64_e32 v[161:162], v[189:190], v[161:162]
	;; [unrolled: 4-line block ×3, first 2 shown]
	v_add_f64_e64 v[110:111], v[38:39], -v[94:95]
	v_add_f64_e32 v[72:73], v[56:57], v[72:73]
	v_fma_f64 v[171:172], v[135:136], s[10:11], v[181:182]
	v_fma_f64 v[129:130], v[135:136], s[12:13], v[129:130]
	v_fma_f64 v[133:134], v[137:138], s[10:11], v[133:134]
	v_fma_f64 v[127:128], v[137:138], s[12:13], v[127:128]
	v_add_f64_e32 v[181:182], v[40:41], v[8:9]
	v_fma_f64 v[141:142], v[173:174], s[12:13], v[141:142]
	v_fma_f64 v[131:132], v[173:174], s[10:11], v[131:132]
	;; [unrolled: 1-line block ×6, first 2 shown]
	v_add_f64_e64 v[135:136], v[56:57], -v[24:25]
	v_add_f64_e64 v[137:138], v[26:27], -v[58:59]
	v_add_f64_e32 v[147:148], v[100:101], v[147:148]
	v_fma_f64 v[199:200], v[185:186], s[10:11], v[199:200]
	v_fma_f64 v[139:140], v[185:186], s[12:13], v[139:140]
	v_add_f64_e32 v[58:59], v[58:59], v[74:75]
	v_add_f64_e64 v[74:75], v[76:77], -v[40:41]
	v_add_f64_e32 v[197:198], v[78:79], v[197:198]
	v_add_f64_e32 v[28:29], v[28:29], v[64:65]
	;; [unrolled: 1-line block ×3, first 2 shown]
	s_wait_loadcnt 0x0
	v_add_f64_e32 v[30:31], v[0:1], v[20:21]
	v_add_f64_e64 v[189:190], v[94:95], -v[38:39]
	v_fma_f64 v[145:146], v[145:146], -0.5, v[68:69]
	v_fma_f64 v[68:69], v[50:51], -0.5, v[68:69]
	v_add_f64_e32 v[66:67], v[32:33], v[40:41]
	v_add_f64_e64 v[108:109], v[92:93], -v[36:37]
	v_add_f64_e32 v[52:53], v[52:53], v[104:105]
	v_fma_f64 v[177:178], v[177:178], -0.5, v[70:71]
	v_add_f64_e32 v[175:176], v[175:176], v[205:206]
	v_fma_f64 v[70:71], v[60:61], -0.5, v[70:71]
	v_add_f64_e64 v[60:61], v[78:79], -v[46:47]
	v_add_f64_e32 v[217:218], v[46:47], v[78:79]
	v_add_f64_e64 v[56:57], v[42:43], -v[78:79]
	v_add_f64_e64 v[50:51], v[78:79], -v[42:43]
	;; [unrolled: 1-line block ×3, first 2 shown]
	v_add_f64_e32 v[104:105], v[34:35], v[42:43]
	v_add_f64_e32 v[205:206], v[24:25], v[72:73]
	v_fma_f64 v[116:117], v[153:154], s[14:15], v[171:172]
	v_fma_f64 v[129:130], v[153:154], s[14:15], v[129:130]
	;; [unrolled: 1-line block ×4, first 2 shown]
	v_add_f64_e64 v[171:172], v[98:99], -v[38:39]
	v_add_f64_e64 v[151:152], v[96:97], -v[100:101]
	v_add_f64_e64 v[153:154], v[100:101], -v[96:97]
	v_add_f64_e64 v[96:97], v[102:103], -v[98:99]
	v_add_f64_e64 v[98:99], v[102:103], -v[94:95]
	v_add_f64_e32 v[102:103], v[102:103], v[149:150]
	v_add_f64_e32 v[181:182], v[76:77], v[181:182]
	v_fma_f64 v[173:174], v[159:160], s[10:11], v[173:174]
	v_fma_f64 v[159:160], v[159:160], s[12:13], v[48:49]
	;; [unrolled: 1-line block ×6, first 2 shown]
	v_add_f64_e64 v[48:49], v[76:77], -v[44:45]
	v_add_f64_e32 v[76:77], v[4:5], v[16:17]
	v_add_f64_e64 v[100:101], v[100:101], -v[92:93]
	v_add_f64_e64 v[149:150], v[36:37], -v[92:93]
	v_add_f64_e32 v[92:93], v[92:93], v[147:148]
	v_fma_f64 v[147:148], v[161:162], s[14:15], v[199:200]
	v_fma_f64 v[139:140], v[161:162], s[14:15], v[139:140]
	v_add_f64_e32 v[135:136], v[135:136], v[207:208]
	v_add_f64_e32 v[207:208], v[26:27], v[58:59]
	v_fma_f64 v[58:59], v[187:188], s[2:3], v[157:158]
	v_fma_f64 v[72:73], v[187:188], s[6:7], v[157:158]
	v_add_f64_e32 v[157:158], v[2:3], v[22:23]
	v_add_f64_e32 v[42:43], v[46:47], v[197:198]
	;; [unrolled: 1-line block ×4, first 2 shown]
	v_add_f64_e64 v[193:194], v[18:19], -v[6:7]
	v_add_f64_e32 v[137:138], v[137:138], v[209:210]
	v_fma_f64 v[209:210], v[30:31], -0.5, v[12:13]
	v_add_f64_e64 v[80:81], v[80:81], -v[24:25]
	v_add_f64_e32 v[24:25], v[52:53], v[28:29]
	v_add_f64_e64 v[30:31], v[28:29], -v[52:53]
	v_mul_f64_e32 v[185:186], s[14:15], v[116:117]
	v_mul_f64_e32 v[118:119], s[14:15], v[129:130]
	;; [unrolled: 1-line block ×4, first 2 shown]
	v_fma_f64 v[52:53], v[171:172], s[2:3], v[145:146]
	v_add_f64_e32 v[54:55], v[54:55], v[106:107]
	v_add_f64_e64 v[106:107], v[32:33], -v[44:45]
	v_add_f64_e32 v[86:87], v[195:196], v[86:87]
	v_add_f64_e64 v[195:196], v[20:21], -v[16:17]
	;; [unrolled: 2-line block ×3, first 2 shown]
	v_add_f64_e32 v[40:41], v[44:45], v[181:182]
	v_fma_f64 v[159:160], v[163:164], s[14:15], v[159:160]
	v_fma_f64 v[173:174], v[163:164], s[14:15], v[173:174]
	v_add_f64_e64 v[44:45], v[44:45], -v[32:33]
	v_add_f64_e64 v[197:198], v[0:1], -v[4:5]
	v_mul_f64_e32 v[133:134], s[12:13], v[133:134]
	v_mul_f64_e32 v[116:117], s[6:7], v[116:117]
	v_fma_f64 v[76:77], v[76:77], -0.5, v[12:13]
	v_add_f64_e32 v[90:91], v[110:111], v[90:91]
	v_add_f64_e32 v[108:109], v[108:109], v[153:154]
	;; [unrolled: 1-line block ×3, first 2 shown]
	v_fma_f64 v[191:192], v[191:192], -0.5, v[8:9]
	v_add_f64_e32 v[12:13], v[20:21], v[12:13]
	v_fma_f64 v[8:9], v[66:67], -0.5, v[8:9]
	v_fma_f64 v[219:220], v[203:204], s[2:3], v[165:166]
	v_fma_f64 v[58:59], v[84:85], s[12:13], v[58:59]
	;; [unrolled: 1-line block ×3, first 2 shown]
	v_fma_f64 v[157:158], v[157:158], -0.5, v[14:15]
	v_add_f64_e32 v[225:226], v[34:35], v[42:43]
	v_add_f64_e32 v[96:97], v[189:190], v[96:97]
	v_fma_f64 v[189:190], v[217:218], -0.5, v[10:11]
	v_fma_f64 v[10:11], v[104:105], -0.5, v[10:11]
	v_fma_f64 v[221:222], v[213:214], s[6:7], v[167:168]
	v_fma_f64 v[167:168], v[213:214], s[2:3], v[167:168]
	;; [unrolled: 1-line block ×3, first 2 shown]
	v_add_f64_e32 v[143:144], v[143:144], v[211:212]
	v_mul_hi_u32 v121, 0xaaaaaaab, v124
	v_fma_f64 v[181:182], v[169:170], s[2:3], v[185:186]
	v_fma_f64 v[118:119], v[114:115], s[2:3], -v[118:119]
	v_fma_f64 v[161:162], v[141:142], s[10:11], v[183:184]
	v_add_f64_e64 v[185:186], v[22:23], -v[2:3]
	v_fma_f64 v[163:164], v[131:132], s[10:11], -v[201:202]
	v_fma_f64 v[201:202], v[84:85], s[6:7], v[155:156]
	v_fma_f64 v[155:156], v[84:85], s[2:3], v[155:156]
	v_add_f64_e64 v[84:85], v[16:17], -v[4:5]
	v_add_f64_e64 v[183:184], v[34:35], -v[46:47]
	v_add_f64_e32 v[94:95], v[38:39], v[94:95]
	v_add_f64_e64 v[46:47], v[46:47], -v[34:35]
	v_add_f64_e32 v[223:224], v[32:33], v[40:41]
	v_fma_f64 v[52:53], v[98:99], s[10:11], v[52:53]
	v_mul_f64_e32 v[114:115], s[14:15], v[114:115]
	v_mul_f64_e32 v[131:132], s[0:1], v[131:132]
	v_add_f64_e32 v[110:111], v[197:198], v[195:196]
	v_fma_f64 v[133:134], v[141:142], s[0:1], v[133:134]
	v_fma_f64 v[116:117], v[169:170], s[14:15], v[116:117]
	v_add_f64_e64 v[169:170], v[2:3], -v[6:7]
	v_add_f64_e32 v[106:107], v[106:107], v[215:216]
	v_add_f64_e32 v[44:45], v[44:45], v[74:75]
	;; [unrolled: 1-line block ×3, first 2 shown]
	v_fma_f64 v[167:168], v[203:204], s[12:13], v[167:168]
	v_fma_f64 v[165:166], v[213:214], s[12:13], v[165:166]
	v_add_f64_e64 v[34:35], v[173:174], -v[181:182]
	v_add_f64_e32 v[38:39], v[159:160], v[118:119]
	v_add_f64_e64 v[40:41], v[159:160], -v[118:119]
	v_fma_f64 v[118:119], v[171:172], s[6:7], v[145:146]
	v_fma_f64 v[145:146], v[98:99], s[6:7], v[68:69]
	;; [unrolled: 1-line block ×3, first 2 shown]
	v_add_f64_e32 v[26:27], v[147:148], v[161:162]
	v_add_f64_e64 v[32:33], v[147:148], -v[161:162]
	v_add_f64_e32 v[147:148], v[149:150], v[151:152]
	v_fma_f64 v[151:152], v[185:186], s[2:3], v[76:77]
	v_fma_f64 v[76:77], v[185:186], s[6:7], v[76:77]
	v_add_f64_e32 v[28:29], v[139:140], v[163:164]
	v_add_f64_e64 v[42:43], v[139:140], -v[163:164]
	v_add_f64_e64 v[139:140], v[16:17], -v[20:21]
	;; [unrolled: 1-line block ×4, first 2 shown]
	v_fma_f64 v[161:162], v[199:200], -0.5, v[14:15]
	v_add_f64_e32 v[36:37], v[173:174], v[181:182]
	v_fma_f64 v[173:174], v[193:194], s[6:7], v[209:210]
	v_fma_f64 v[181:182], v[193:194], s[2:3], v[209:210]
	;; [unrolled: 1-line block ×6, first 2 shown]
	v_add_f64_e32 v[14:15], v[22:23], v[14:15]
	v_fma_f64 v[155:156], v[187:188], s[10:11], v[155:156]
	v_fma_f64 v[114:115], v[129:130], s[6:7], -v[114:115]
	v_fma_f64 v[129:130], v[78:79], s[2:3], v[191:192]
	v_fma_f64 v[127:128], v[127:128], s[12:13], -v[131:132]
	v_fma_f64 v[131:132], v[60:61], s[6:7], v[8:9]
	v_fma_f64 v[8:9], v[60:61], s[2:3], v[8:9]
	;; [unrolled: 1-line block ×5, first 2 shown]
	v_add_f64_e32 v[4:5], v[4:5], v[12:13]
	v_add_f64_e32 v[46:47], v[46:47], v[50:51]
	v_fma_f64 v[98:99], v[98:99], s[12:13], v[118:119]
	v_fma_f64 v[145:146], v[171:172], s[10:11], v[145:146]
	;; [unrolled: 1-line block ×9, first 2 shown]
	v_add_f64_e64 v[151:152], v[18:19], -v[22:23]
	v_add_f64_e64 v[193:194], v[6:7], -v[2:3]
	v_add_f64_e32 v[139:140], v[149:150], v[139:140]
	v_add_f64_e64 v[149:150], v[22:23], -v[18:19]
	v_fma_f64 v[197:198], v[159:160], s[2:3], v[161:162]
	v_fma_f64 v[161:162], v[159:160], s[6:7], v[161:162]
	;; [unrolled: 1-line block ×10, first 2 shown]
	v_add_f64_e64 v[58:59], v[64:65], -v[54:55]
	v_add_f64_e32 v[14:15], v[18:19], v[14:15]
	v_fma_f64 v[112:113], v[112:113], s[14:15], v[155:156]
	v_fma_f64 v[129:130], v[60:61], s[10:11], v[129:130]
	;; [unrolled: 1-line block ×5, first 2 shown]
	v_add_f64_e32 v[163:164], v[183:184], v[56:57]
	v_fma_f64 v[86:87], v[86:87], s[14:15], v[72:73]
	v_fma_f64 v[98:99], v[147:148], s[14:15], v[98:99]
	;; [unrolled: 1-line block ×10, first 2 shown]
	v_add_f64_e32 v[104:105], v[193:194], v[151:152]
	v_fma_f64 v[141:142], v[78:79], s[6:7], v[191:192]
	v_add_f64_e32 v[88:89], v[169:170], v[149:150]
	v_fma_f64 v[118:119], v[84:85], s[10:11], v[197:198]
	v_fma_f64 v[84:85], v[84:85], s[12:13], v[161:162]
	;; [unrolled: 1-line block ×6, first 2 shown]
	v_add_f64_e32 v[62:63], v[54:55], v[64:65]
	v_fma_f64 v[149:150], v[102:103], s[6:7], v[189:190]
	v_fma_f64 v[151:152], v[102:103], s[2:3], v[189:190]
	v_add_f64_e32 v[64:65], v[153:154], v[133:134]
	v_add_f64_e64 v[66:67], v[153:154], -v[133:134]
	v_add_f64_e64 v[68:69], v[199:200], -v[116:117]
	v_add_f64_e32 v[6:7], v[6:7], v[14:15]
	v_fma_f64 v[82:83], v[82:83], s[10:11], v[179:180]
	v_fma_f64 v[161:162], v[135:136], s[14:15], v[187:188]
	;; [unrolled: 1-line block ×3, first 2 shown]
	v_add_f64_e32 v[56:57], v[112:113], v[127:128]
	v_add_f64_e32 v[72:73], v[86:87], v[114:115]
	v_mul_f64_e32 v[153:154], s[14:15], v[145:146]
	v_mul_f64_e32 v[155:156], s[14:15], v[108:109]
	v_fma_f64 v[54:55], v[96:97], s[14:15], v[157:158]
	v_mul_f64_e32 v[157:158], s[0:1], v[98:99]
	v_fma_f64 v[76:77], v[90:91], s[14:15], v[171:172]
	v_fma_f64 v[18:19], v[90:91], s[14:15], v[100:101]
	;; [unrolled: 1-line block ×9, first 2 shown]
	v_mul_f64_e32 v[118:119], s[0:1], v[52:53]
	v_mul_f64_e32 v[52:53], s[12:13], v[52:53]
	v_fma_f64 v[12:13], v[88:89], s[14:15], v[84:85]
	v_mul_f64_e32 v[84:85], s[0:1], v[20:21]
	v_mul_f64_e32 v[88:89], s[14:15], v[147:148]
	;; [unrolled: 1-line block ×4, first 2 shown]
	v_fma_f64 v[133:134], v[80:81], s[12:13], v[177:178]
	v_fma_f64 v[80:81], v[80:81], s[10:11], v[181:182]
	v_add_f64_e32 v[70:71], v[199:200], v[116:117]
	v_mul_f64_e32 v[116:117], s[6:7], v[145:146]
	v_fma_f64 v[149:150], v[48:49], s[12:13], v[149:150]
	v_mul_f64_e32 v[14:15], s[12:13], v[20:21]
	v_fma_f64 v[48:49], v[48:49], s[10:11], v[151:152]
	v_mul_f64_e32 v[50:51], s[6:7], v[147:148]
	v_fma_f64 v[141:142], v[175:176], s[14:15], v[165:166]
	v_fma_f64 v[165:166], v[44:45], s[14:15], v[8:9]
	v_mul_f64_e32 v[145:146], s[14:15], v[54:55]
	v_fma_f64 v[54:55], v[54:55], s[2:3], -v[155:156]
	v_mul_f64_e32 v[159:160], s[0:1], v[76:77]
	v_fma_f64 v[151:152], v[76:77], s[10:11], -v[157:158]
	v_fma_f64 v[20:21], v[102:103], s[12:13], v[90:91]
	v_fma_f64 v[10:11], v[102:103], s[10:11], v[10:11]
	;; [unrolled: 1-line block ×3, first 2 shown]
	v_mul_f64_e32 v[90:91], s[14:15], v[96:97]
	v_fma_f64 v[157:158], v[44:45], s[14:15], v[74:75]
	v_fma_f64 v[60:61], v[106:107], s[14:15], v[60:61]
	v_mul_f64_e32 v[102:103], s[0:1], v[100:101]
	v_fma_f64 v[118:119], v[18:19], s[10:11], v[118:119]
	v_fma_f64 v[155:156], v[18:19], s[0:1], v[52:53]
	;; [unrolled: 1-line block ×3, first 2 shown]
	v_add_f64_e32 v[129:130], v[0:1], v[4:5]
	v_fma_f64 v[84:85], v[12:13], s[10:11], v[84:85]
	v_fma_f64 v[88:89], v[16:17], s[2:3], v[88:89]
	v_fma_f64 v[96:97], v[96:97], s[2:3], -v[78:79]
	v_fma_f64 v[100:101], v[100:101], s[10:11], -v[104:105]
	v_fma_f64 v[153:154], v[137:138], s[14:15], v[185:186]
	v_lshrrev_b32_e32 v76, 3, v121
	v_fma_f64 v[133:134], v[143:144], s[14:15], v[133:134]
	v_fma_f64 v[116:117], v[22:23], s[14:15], v[116:117]
	;; [unrolled: 1-line block ×4, first 2 shown]
	v_mul_lo_u32 v18, v76, 12
	v_add_f64_e64 v[76:77], v[112:113], -v[127:128]
	v_fma_f64 v[112:113], v[163:164], s[14:15], v[149:150]
	v_fma_f64 v[149:150], v[12:13], s[0:1], v[14:15]
	;; [unrolled: 1-line block ×4, first 2 shown]
	v_add_f64_e64 v[74:75], v[86:87], -v[114:115]
	v_add_f64_e32 v[78:79], v[94:95], v[207:208]
	v_sub_nc_u32_e32 v0, v124, v18
	v_fma_f64 v[108:109], v[108:109], s[6:7], -v[145:146]
	v_add_f64_e32 v[145:146], v[2:3], v[6:7]
	v_fma_f64 v[137:138], v[98:99], s[12:13], -v[159:160]
	s_delay_alu instid0(VALU_DEP_4)
	v_mul_u32_u24_e32 v114, 0x96, v0
	v_fma_f64 v[159:160], v[46:47], s[14:15], v[20:21]
	v_fma_f64 v[163:164], v[46:47], s[14:15], v[10:11]
	v_add_f64_e32 v[0:1], v[92:93], v[205:206]
	v_fma_f64 v[139:140], v[139:140], s[6:7], -v[90:91]
	v_add_f64_e32 v[4:5], v[161:162], v[147:148]
	v_add_f64_e32 v[6:7], v[135:136], v[54:55]
	v_fma_f64 v[102:103], v[110:111], s[12:13], -v[102:103]
	v_add_f64_e32 v[2:3], v[131:132], v[118:119]
	v_add_f64_e32 v[8:9], v[141:142], v[151:152]
	v_add_f64_e64 v[10:11], v[205:206], -v[92:93]
	v_add_f64_e64 v[12:13], v[131:132], -v[118:119]
	;; [unrolled: 1-line block ×5, first 2 shown]
	v_add_f64_e32 v[20:21], v[129:130], v[223:224]
	v_add_f64_e32 v[22:23], v[52:53], v[84:85]
	;; [unrolled: 1-line block ×4, first 2 shown]
	v_add_f64_e64 v[44:45], v[52:53], -v[84:85]
	v_add_f64_e64 v[54:55], v[223:224], -v[129:130]
	v_add_f64_e32 v[52:53], v[60:61], v[100:101]
	v_add_f64_e64 v[46:47], v[157:158], -v[88:89]
	v_add_f64_e64 v[86:87], v[165:166], -v[96:97]
	;; [unrolled: 1-line block ×3, first 2 shown]
	v_add_f64_e32 v[80:81], v[153:154], v[155:156]
	v_lshlrev_b32_e32 v60, 3, v114
	v_add_f64_e32 v[82:83], v[133:134], v[116:117]
	v_add_f64_e64 v[96:97], v[133:134], -v[116:117]
	v_add_f64_e32 v[118:119], v[112:113], v[149:150]
	v_mul_u32_u24_e32 v61, 10, v120
	v_add_nc_u32_e32 v115, 0, v60
	v_add_f64_e64 v[92:93], v[207:208], -v[94:95]
	v_add_f64_e64 v[94:95], v[153:154], -v[155:156]
	;; [unrolled: 1-line block ×3, first 2 shown]
	v_add_f64_e32 v[84:85], v[106:107], v[108:109]
	v_add_f64_e32 v[116:117], v[145:146], v[225:226]
	;; [unrolled: 1-line block ×3, first 2 shown]
	v_add_f64_e64 v[133:134], v[225:226], -v[145:146]
	v_add_f64_e32 v[127:128], v[159:160], v[167:168]
	v_add_f64_e64 v[98:99], v[106:107], -v[108:109]
	v_add_f64_e64 v[100:101], v[104:105], -v[137:138]
	v_mov_b32_e32 v104, 0
	v_add_f64_e32 v[129:130], v[163:164], v[139:140]
	v_add_f64_e64 v[137:138], v[159:160], -v[167:168]
	v_add_f64_e32 v[131:132], v[143:144], v[102:103]
	v_add_f64_e64 v[139:140], v[163:164], -v[139:140]
	v_add_f64_e64 v[141:142], v[143:144], -v[102:103]
	v_lshl_add_u32 v61, v61, 3, v115
	ds_store_b128 v61, v[24:27]
	ds_store_b128 v61, v[36:39] offset:16
	ds_store_b128 v61, v[28:31] offset:32
	;; [unrolled: 1-line block ×11, first 2 shown]
	v_lshlrev_b32_e32 v0, 3, v120
	v_add_nc_u32_e32 v112, 5, v120
	v_lshlrev_b32_e32 v103, 2, v120
	v_lshl_add_u32 v111, v125, 3, v115
	ds_store_b128 v61, v[52:55] offset:832
	ds_store_b128 v61, v[44:47] offset:848
	;; [unrolled: 1-line block ×3, first 2 shown]
	v_add3_u32 v109, 0, v0, v60
	v_add_nc_u32_e32 v110, v115, v0
	global_wb scope:SCOPE_SE
	s_wait_dscnt 0x0
	s_barrier_signal -1
	s_barrier_wait -1
	global_inv scope:SCOPE_SE
	ds_load_2addr_b64 v[0:3], v109 offset0:25 offset1:30
	ds_load_2addr_b64 v[48:51], v109 offset0:60 offset1:65
	;; [unrolled: 1-line block ×6, first 2 shown]
	ds_load_b64 v[105:106], v110
	ds_load_b64 v[107:108], v111
	ds_load_2addr_b64 v[52:55], v109 offset0:70 offset1:75
	ds_load_2addr_b64 v[44:47], v109 offset0:100 offset1:105
	;; [unrolled: 1-line block ×8, first 2 shown]
	global_wb scope:SCOPE_SE
	s_wait_dscnt 0x0
	s_barrier_signal -1
	s_barrier_wait -1
	global_inv scope:SCOPE_SE
	ds_store_b128 v61, v[62:65]
	ds_store_b128 v61, v[70:73] offset:16
	ds_store_b128 v61, v[56:59] offset:32
	;; [unrolled: 1-line block ×5, first 2 shown]
	v_lshlrev_b64_e32 v[56:57], 4, v[103:104]
	v_lshlrev_b32_e32 v103, 2, v112
	ds_store_b128 v61, v[82:85] offset:416
	ds_store_b128 v61, v[90:93] offset:432
	;; [unrolled: 1-line block ×9, first 2 shown]
	v_lshlrev_b64_e32 v[58:59], 4, v[103:104]
	global_wb scope:SCOPE_SE
	s_wait_dscnt 0x0
	s_barrier_signal -1
	s_barrier_wait -1
	global_inv scope:SCOPE_SE
	v_add_nc_u32_e32 v114, 20, v120
	v_add_co_u32 v72, s0, s4, v58
	s_wait_alu 0xf1ff
	v_add_co_ci_u32_e64 v73, s0, s5, v59, s0
	v_add_co_u32 v80, s0, s4, v56
	s_wait_alu 0xf1ff
	v_add_co_ci_u32_e64 v81, s0, s5, v57, s0
	s_clause 0x4
	global_load_b128 v[127:130], v[72:73], off
	global_load_b128 v[68:71], v[80:81], off offset:16
	global_load_b128 v[64:67], v[72:73], off offset:16
	;; [unrolled: 1-line block ×4, first 2 shown]
	v_add_nc_u32_e32 v113, 25, v120
	v_and_b32_e32 v74, 0xff, v114
	s_delay_alu instid0(VALU_DEP_2) | instskip(NEXT) | instid1(VALU_DEP_2)
	v_and_b32_e32 v82, 0xff, v113
	v_mul_lo_u16 v83, 0xcd, v74
	s_clause 0x1
	global_load_b128 v[76:79], v[80:81], off offset:48
	global_load_b128 v[72:75], v[72:73], off offset:48
	v_mul_lo_u16 v82, 0xcd, v82
	v_lshrrev_b16 v83, 11, v83
	s_delay_alu instid0(VALU_DEP_2) | instskip(NEXT) | instid1(VALU_DEP_2)
	v_lshrrev_b16 v82, 11, v82
	v_mul_lo_u16 v83, v83, 10
	s_delay_alu instid0(VALU_DEP_2) | instskip(NEXT) | instid1(VALU_DEP_2)
	v_mul_lo_u16 v84, v82, 10
	v_sub_nc_u16 v85, v114, v83
	global_load_b128 v[80:83], v[80:81], off
	v_sub_nc_u16 v84, v113, v84
	v_and_b32_e32 v117, 0xff, v85
	s_delay_alu instid0(VALU_DEP_2) | instskip(NEXT) | instid1(VALU_DEP_2)
	v_and_b32_e32 v116, 0xff, v84
	v_lshlrev_b32_e32 v118, 6, v117
	s_delay_alu instid0(VALU_DEP_2)
	v_lshlrev_b32_e32 v119, 6, v116
	s_clause 0x7
	global_load_b128 v[88:91], v118, s[4:5]
	global_load_b128 v[84:87], v119, s[4:5]
	global_load_b128 v[92:95], v118, s[4:5] offset:16
	global_load_b128 v[96:99], v119, s[4:5] offset:16
	global_load_b128 v[100:103], v118, s[4:5] offset:32
	global_load_b128 v[131:134], v119, s[4:5] offset:32
	global_load_b128 v[135:138], v118, s[4:5] offset:48
	global_load_b128 v[139:142], v119, s[4:5] offset:48
	ds_load_2addr_b64 v[143:146], v109 offset0:35 offset1:45
	ds_load_2addr_b64 v[147:150], v109 offset0:60 offset1:65
	;; [unrolled: 1-line block ×8, first 2 shown]
	ds_load_b64 v[209:210], v111
	s_wait_loadcnt_dscnt 0xe07
	v_mul_f64_e32 v[179:180], v[147:148], v[70:71]
	v_mul_f64_e32 v[118:119], v[143:144], v[129:130]
	;; [unrolled: 1-line block ×4, first 2 shown]
	s_wait_loadcnt 0xd
	v_mul_f64_e32 v[181:182], v[149:150], v[66:67]
	s_wait_dscnt 0x6
	v_mul_f64_e32 v[187:188], v[151:152], v[70:71]
	v_mul_f64_e32 v[189:190], v[52:53], v[70:71]
	;; [unrolled: 1-line block ×4, first 2 shown]
	s_wait_loadcnt_dscnt 0xb05
	v_mul_f64_e32 v[207:208], v[161:162], v[58:59]
	v_mul_f64_e32 v[129:130], v[10:11], v[129:130]
	;; [unrolled: 1-line block ×4, first 2 shown]
	s_wait_dscnt 0x4
	v_mul_f64_e32 v[195:196], v[155:156], v[62:63]
	v_mul_f64_e32 v[199:200], v[40:41], v[62:63]
	;; [unrolled: 1-line block ×6, first 2 shown]
	s_wait_loadcnt_dscnt 0xa03
	v_mul_f64_e32 v[211:212], v[163:164], v[78:79]
	s_wait_loadcnt 0x9
	v_mul_f64_e32 v[213:214], v[165:166], v[74:75]
	v_mul_f64_e32 v[215:216], v[38:39], v[74:75]
	s_wait_dscnt 0x2
	v_mul_f64_e32 v[217:218], v[167:168], v[78:79]
	v_fma_f64 v[179:180], v[48:49], v[68:69], -v[179:180]
	v_fma_f64 v[70:71], v[8:9], v[127:128], -v[118:119]
	;; [unrolled: 1-line block ×3, first 2 shown]
	v_fma_f64 v[175:176], v[143:144], v[127:128], v[177:178]
	ds_load_2addr_b64 v[8:11], v109 offset0:25 offset1:30
	ds_load_b64 v[177:178], v110
	v_mul_f64_e32 v[118:119], v[46:47], v[58:59]
	v_fma_f64 v[181:182], v[50:51], v[64:65], -v[181:182]
	v_mul_f64_e32 v[50:51], v[36:37], v[78:79]
	v_mul_f64_e32 v[78:79], v[32:33], v[78:79]
	v_fma_f64 v[187:188], v[52:53], v[68:69], -v[187:188]
	v_fma_f64 v[151:152], v[151:152], v[68:69], v[189:190]
	s_wait_loadcnt_dscnt 0x802
	v_mul_f64_e32 v[189:190], v[209:210], v[82:83]
	v_fma_f64 v[66:67], v[54:55], v[64:65], -v[191:192]
	v_mul_f64_e32 v[54:55], v[107:108], v[82:83]
	v_fma_f64 v[52:53], v[153:154], v[64:65], v[193:194]
	v_fma_f64 v[48:49], v[46:47], v[56:57], -v[207:208]
	v_mul_f64_e32 v[46:47], v[2:3], v[82:83]
	v_fma_f64 v[58:59], v[145:146], v[127:128], v[129:130]
	v_fma_f64 v[183:184], v[147:148], v[68:69], v[183:184]
	;; [unrolled: 1-line block ×3, first 2 shown]
	ds_load_2addr_b64 v[127:130], v109 offset0:80 offset1:85
	ds_load_2addr_b64 v[143:146], v109 offset0:110 offset1:115
	;; [unrolled: 1-line block ×3, first 2 shown]
	v_fma_f64 v[153:154], v[40:41], v[60:61], -v[195:196]
	s_wait_dscnt 0x4
	v_mul_f64_e32 v[193:194], v[10:11], v[82:83]
	v_fma_f64 v[191:192], v[42:43], v[56:57], -v[197:198]
	v_mul_f64_e32 v[42:43], v[169:170], v[74:75]
	v_fma_f64 v[155:156], v[155:156], v[60:61], v[199:200]
	v_fma_f64 v[157:158], v[157:158], v[56:57], v[201:202]
	v_mul_f64_e32 v[195:196], v[34:35], v[74:75]
	s_wait_loadcnt 0x7
	v_mul_f64_e32 v[197:198], v[171:172], v[90:91]
	v_fma_f64 v[199:200], v[44:45], v[60:61], -v[203:204]
	v_fma_f64 v[159:160], v[159:160], v[60:61], v[205:206]
	v_mul_f64_e32 v[44:45], v[28:29], v[90:91]
	s_wait_loadcnt 0x6
	v_mul_f64_e32 v[90:91], v[173:174], v[86:87]
	v_mul_f64_e32 v[82:83], v[30:31], v[86:87]
	s_wait_loadcnt 0x5
	v_mul_f64_e32 v[86:87], v[24:25], v[94:95]
	v_fma_f64 v[60:61], v[38:39], v[72:73], -v[213:214]
	v_fma_f64 v[64:65], v[165:166], v[72:73], v[215:216]
	v_fma_f64 v[68:69], v[32:33], v[76:77], -v[217:218]
	s_wait_loadcnt_dscnt 0x100
	v_mul_f64_e32 v[165:166], v[147:148], v[137:138]
	v_mul_f64_e32 v[137:138], v[16:17], v[137:138]
	v_fma_f64 v[40:41], v[161:162], v[56:57], v[118:119]
	v_mul_f64_e32 v[56:57], v[127:128], v[94:95]
	v_mul_f64_e32 v[94:95], v[129:130], v[98:99]
	;; [unrolled: 1-line block ×3, first 2 shown]
	v_fma_f64 v[118:119], v[36:37], v[76:77], -v[211:212]
	v_mul_f64_e32 v[161:162], v[143:144], v[102:103]
	v_mul_f64_e32 v[102:103], v[20:21], v[102:103]
	v_fma_f64 v[74:75], v[163:164], v[76:77], v[50:51]
	v_mul_f64_e32 v[163:164], v[145:146], v[133:134]
	v_mul_f64_e32 v[133:134], v[22:23], v[133:134]
	v_fma_f64 v[32:33], v[167:168], v[76:77], v[78:79]
	v_fma_f64 v[107:108], v[107:108], v[80:81], -v[189:190]
	s_wait_loadcnt 0x0
	v_mul_f64_e32 v[167:168], v[149:150], v[141:142]
	v_fma_f64 v[189:190], v[209:210], v[80:81], v[54:55]
	ds_load_2addr_b64 v[76:79], v109 offset0:5 offset1:10
	v_mul_f64_e32 v[141:142], v[18:19], v[141:142]
	v_add_f64_e64 v[211:212], v[179:180], -v[153:154]
	v_fma_f64 v[193:194], v[2:3], v[80:81], -v[193:194]
	v_fma_f64 v[80:81], v[10:11], v[80:81], v[46:47]
	v_fma_f64 v[36:37], v[34:35], v[72:73], -v[42:43]
	v_fma_f64 v[34:35], v[169:170], v[72:73], v[195:196]
	v_fma_f64 v[54:55], v[28:29], v[88:89], -v[197:198]
	v_add_f64_e64 v[195:196], v[185:186], -v[175:176]
	v_fma_f64 v[44:45], v[171:172], v[88:89], v[44:45]
	v_fma_f64 v[38:39], v[30:31], v[84:85], -v[90:91]
	v_fma_f64 v[28:29], v[173:174], v[84:85], v[82:83]
	v_fma_f64 v[46:47], v[127:128], v[92:93], v[86:87]
	v_add_f64_e32 v[72:73], v[70:71], v[60:61]
	v_add_f64_e32 v[86:87], v[185:186], v[157:158]
	;; [unrolled: 1-line block ×3, first 2 shown]
	s_wait_dscnt 0x0
	v_add_f64_e32 v[171:172], v[76:77], v[175:176]
	v_add_f64_e64 v[197:198], v[157:158], -v[64:65]
	v_add_f64_e64 v[203:204], v[68:69], -v[199:200]
	v_fma_f64 v[10:11], v[147:148], v[135:136], v[137:138]
	v_add_f64_e32 v[137:138], v[183:184], v[155:156]
	v_fma_f64 v[56:57], v[24:25], v[92:93], -v[56:57]
	v_fma_f64 v[42:43], v[26:27], v[96:97], -v[94:95]
	v_fma_f64 v[30:31], v[129:130], v[96:97], v[98:99]
	v_add_f64_e32 v[92:93], v[151:152], v[159:160]
	v_fma_f64 v[50:51], v[20:21], v[100:101], -v[161:162]
	v_fma_f64 v[24:25], v[143:144], v[100:101], v[102:103]
	v_fma_f64 v[20:21], v[16:17], v[135:136], -v[165:166]
	v_fma_f64 v[26:27], v[22:23], v[131:132], -v[163:164]
	v_fma_f64 v[22:23], v[145:146], v[131:132], v[133:134]
	v_add_f64_e32 v[96:97], v[179:180], v[153:154]
	v_add_f64_e64 v[102:103], v[118:119], -v[153:154]
	v_fma_f64 v[16:17], v[18:19], v[139:140], -v[167:168]
	v_add_f64_e32 v[94:95], v[189:190], v[32:33]
	v_add_f64_e64 v[129:130], v[153:154], -v[118:119]
	v_add_f64_e64 v[133:134], v[74:75], -v[155:156]
	v_add_f64_e32 v[18:19], v[181:182], v[191:192]
	v_add_f64_e32 v[165:166], v[12:13], v[70:71]
	;; [unrolled: 1-line block ×4, first 2 shown]
	v_add_f64_e64 v[100:101], v[193:194], -v[179:180]
	v_add_f64_e64 v[127:128], v[179:180], -v[193:194]
	;; [unrolled: 1-line block ×3, first 2 shown]
	v_add_f64_e32 v[143:144], v[80:81], v[74:75]
	v_add_f64_e32 v[167:168], v[177:178], v[80:81]
	;; [unrolled: 1-line block ×3, first 2 shown]
	v_fma_f64 v[2:3], v[149:150], v[139:140], v[141:142]
	v_add_f64_e64 v[135:136], v[183:184], -v[80:81]
	v_add_f64_e64 v[141:142], v[70:71], -v[181:182]
	;; [unrolled: 1-line block ×5, first 2 shown]
	v_add_f64_e32 v[173:174], v[78:79], v[189:190]
	v_add_f64_e64 v[201:202], v[107:108], -v[187:188]
	v_fma_f64 v[72:73], v[72:73], -0.5, v[12:13]
	v_add_f64_e64 v[80:81], v[80:81], -v[74:75]
	v_add_f64_e64 v[193:194], v[193:194], -v[118:119]
	v_fma_f64 v[86:87], v[86:87], -0.5, v[76:77]
	v_fma_f64 v[76:77], v[88:89], -0.5, v[76:77]
	v_add_f64_e64 v[70:71], v[70:71], -v[60:61]
	v_add_f64_e32 v[82:83], v[187:188], v[199:200]
	v_add_f64_e32 v[84:85], v[107:108], v[68:69]
	v_fma_f64 v[88:89], v[92:93], -0.5, v[78:79]
	v_fma_f64 v[92:93], v[137:138], -0.5, v[177:178]
	v_add_f64_e64 v[139:140], v[155:156], -v[74:75]
	v_add_f64_e64 v[145:146], v[60:61], -v[191:192]
	;; [unrolled: 1-line block ×4, first 2 shown]
	v_fma_f64 v[96:97], v[96:97], -0.5, v[105:106]
	v_add_f64_e64 v[149:150], v[191:192], -v[60:61]
	v_add_f64_e64 v[205:206], v[187:188], -v[107:108]
	v_fma_f64 v[78:79], v[94:95], -0.5, v[78:79]
	v_add_f64_e64 v[94:95], v[185:186], -v[157:158]
	v_add_f64_e64 v[207:208], v[199:200], -v[68:69]
	v_fma_f64 v[18:19], v[18:19], -0.5, v[12:13]
	v_add_f64_e32 v[165:166], v[165:166], v[181:182]
	v_add_f64_e32 v[90:91], v[90:91], v[179:180]
	v_fma_f64 v[98:99], v[98:99], -0.5, v[105:106]
	v_add_f64_e64 v[105:106], v[183:184], -v[155:156]
	v_add_f64_e32 v[100:101], v[100:101], v[102:103]
	v_add_f64_e64 v[102:103], v[62:63], -v[66:67]
	v_fma_f64 v[143:144], v[143:144], -0.5, v[177:178]
	v_add_f64_e32 v[127:128], v[127:128], v[129:130]
	v_add_f64_e64 v[129:130], v[36:37], -v[48:49]
	v_add_f64_e32 v[131:132], v[131:132], v[133:134]
	v_add_f64_e32 v[133:134], v[167:168], v[183:184]
	;; [unrolled: 1-line block ×3, first 2 shown]
	v_add_f64_e64 v[177:178], v[159:160], -v[32:33]
	v_add_f64_e64 v[181:182], v[181:182], -v[191:192]
	v_add_f64_e32 v[169:170], v[169:170], v[187:188]
	v_add_f64_e64 v[209:210], v[189:190], -v[151:152]
	v_add_f64_e32 v[171:172], v[66:67], v[48:49]
	v_add_f64_e64 v[183:184], v[187:188], -v[199:200]
	v_add_f64_e64 v[185:186], v[189:190], -v[32:33]
	v_add_f64_e32 v[161:162], v[161:162], v[163:164]
	v_add_f64_e32 v[187:188], v[195:196], v[197:198]
	;; [unrolled: 1-line block ×3, first 2 shown]
	v_add_f64_e64 v[107:108], v[107:108], -v[68:69]
	v_fma_f64 v[82:83], v[82:83], -0.5, v[14:15]
	v_fma_f64 v[84:85], v[84:85], -0.5, v[14:15]
	ds_load_2addr_b64 v[12:15], v109 offset0:15 offset1:20
	v_fma_f64 v[197:198], v[193:194], s[6:7], v[92:93]
	v_fma_f64 v[92:93], v[193:194], s[2:3], v[92:93]
	v_add_f64_e32 v[135:136], v[135:136], v[139:140]
	v_add_f64_e64 v[139:140], v[151:152], -v[159:160]
	v_add_f64_e32 v[141:142], v[141:142], v[145:146]
	v_fma_f64 v[163:164], v[80:81], s[2:3], v[96:97]
	v_fma_f64 v[96:97], v[80:81], s[6:7], v[96:97]
	v_add_f64_e32 v[145:146], v[62:63], v[36:37]
	v_add_f64_e32 v[151:152], v[173:174], v[151:152]
	;; [unrolled: 1-line block ×4, first 2 shown]
	v_add_f64_e64 v[149:150], v[58:59], -v[34:35]
	v_add_f64_e32 v[201:202], v[205:206], v[207:208]
	v_add_f64_e32 v[90:91], v[90:91], v[153:154]
	;; [unrolled: 1-line block ×3, first 2 shown]
	v_fma_f64 v[189:190], v[105:106], s[6:7], v[98:99]
	v_fma_f64 v[98:99], v[105:106], s[2:3], v[98:99]
	v_add_f64_e64 v[179:180], v[32:33], -v[159:160]
	v_fma_f64 v[203:204], v[211:212], s[2:3], v[143:144]
	v_fma_f64 v[143:144], v[211:212], s[6:7], v[143:144]
	v_add_f64_e32 v[102:103], v[102:103], v[129:130]
	v_fma_f64 v[129:130], v[94:95], s[6:7], v[72:73]
	v_fma_f64 v[72:73], v[94:95], s[2:3], v[72:73]
	v_add_f64_e32 v[157:158], v[167:168], v[157:158]
	v_fma_f64 v[167:168], v[70:71], s[6:7], v[86:87]
	v_add_f64_e32 v[137:138], v[137:138], v[177:178]
	v_fma_f64 v[177:178], v[175:176], s[2:3], v[18:19]
	v_fma_f64 v[18:19], v[175:176], s[6:7], v[18:19]
	v_add_f64_e32 v[133:134], v[133:134], v[155:156]
	v_add_f64_e32 v[155:156], v[165:166], v[191:192]
	;; [unrolled: 1-line block ×3, first 2 shown]
	v_fma_f64 v[86:87], v[70:71], s[2:3], v[86:87]
	v_fma_f64 v[169:170], v[181:182], s[2:3], v[76:77]
	;; [unrolled: 1-line block ×3, first 2 shown]
	v_fma_f64 v[171:172], v[171:172], -0.5, v[4:5]
	v_add_f64_e64 v[153:154], v[52:53], -v[40:41]
	v_fma_f64 v[191:192], v[185:186], s[2:3], v[82:83]
	v_fma_f64 v[82:83], v[185:186], s[6:7], v[82:83]
	;; [unrolled: 1-line block ×4, first 2 shown]
	v_add_f64_e32 v[207:208], v[4:5], v[62:63]
	v_fma_f64 v[199:200], v[139:140], s[6:7], v[84:85]
	v_fma_f64 v[84:85], v[139:140], s[2:3], v[84:85]
	;; [unrolled: 1-line block ×4, first 2 shown]
	v_add_f64_e64 v[105:106], v[66:67], -v[62:63]
	v_add_f64_e32 v[151:152], v[151:152], v[159:160]
	v_fma_f64 v[159:160], v[107:108], s[6:7], v[88:89]
	v_fma_f64 v[88:89], v[107:108], s[2:3], v[88:89]
	v_add_f64_e64 v[62:63], v[62:63], -v[36:37]
	v_fma_f64 v[4:5], v[145:146], -0.5, v[4:5]
	v_add_f64_e32 v[90:91], v[90:91], v[118:119]
	v_fma_f64 v[118:119], v[183:184], s[2:3], v[78:79]
	v_fma_f64 v[78:79], v[183:184], s[6:7], v[78:79]
	;; [unrolled: 1-line block ×4, first 2 shown]
	v_add_f64_e32 v[98:99], v[56:57], v[50:51]
	v_fma_f64 v[203:204], v[193:194], s[12:13], v[203:204]
	v_fma_f64 v[143:144], v[193:194], s[10:11], v[143:144]
	v_add_f64_e32 v[193:194], v[54:55], v[20:21]
	v_fma_f64 v[129:130], v[175:176], s[10:11], v[129:130]
	v_fma_f64 v[72:73], v[175:176], s[12:13], v[72:73]
	;; [unrolled: 1-line block ×3, first 2 shown]
	s_wait_dscnt 0x0
	v_fma_f64 v[145:146], v[173:174], -0.5, v[12:13]
	v_fma_f64 v[177:178], v[94:95], s[10:11], v[177:178]
	v_fma_f64 v[18:19], v[94:95], s[12:13], v[18:19]
	v_add_f64_e32 v[94:95], v[12:13], v[58:59]
	v_add_f64_e32 v[60:61], v[155:156], v[60:61]
	v_add_f64_e64 v[175:176], v[66:67], -v[48:49]
	v_fma_f64 v[86:87], v[181:182], s[10:11], v[86:87]
	v_fma_f64 v[155:156], v[70:71], s[12:13], v[169:170]
	;; [unrolled: 1-line block ×3, first 2 shown]
	v_fma_f64 v[12:13], v[205:206], -0.5, v[12:13]
	v_add_f64_e32 v[133:134], v[133:134], v[74:75]
	v_fma_f64 v[74:75], v[149:150], s[2:3], v[171:172]
	v_fma_f64 v[171:172], v[149:150], s[6:7], v[171:172]
	v_add_f64_e32 v[68:69], v[165:166], v[68:69]
	v_fma_f64 v[92:93], v[131:132], s[14:15], v[92:93]
	v_add_f64_e64 v[165:166], v[46:47], -v[24:25]
	v_add_f64_e32 v[181:182], v[38:39], v[16:17]
	v_add_f64_e32 v[64:65], v[157:158], v[64:65]
	v_fma_f64 v[76:77], v[139:140], s[10:11], v[191:192]
	v_fma_f64 v[96:97], v[100:101], s[14:15], v[96:97]
	;; [unrolled: 1-line block ×7, first 2 shown]
	v_add_f64_e64 v[159:160], v[44:45], -v[10:11]
	v_add_f64_e32 v[66:67], v[207:208], v[66:67]
	v_fma_f64 v[118:119], v[107:108], s[12:13], v[118:119]
	v_fma_f64 v[78:79], v[107:108], s[10:11], v[78:79]
	;; [unrolled: 1-line block ×4, first 2 shown]
	v_fma_f64 v[98:99], v[98:99], -0.5, v[6:7]
	v_fma_f64 v[80:81], v[127:128], s[14:15], v[80:81]
	v_fma_f64 v[127:128], v[131:132], s[14:15], v[197:198]
	v_add_f64_e32 v[131:132], v[46:47], v[24:25]
	v_fma_f64 v[169:170], v[193:194], -0.5, v[6:7]
	v_add_f64_e32 v[6:7], v[6:7], v[54:55]
	v_fma_f64 v[129:130], v[147:148], s[14:15], v[129:130]
	v_fma_f64 v[72:73], v[147:148], s[14:15], v[72:73]
	;; [unrolled: 1-line block ×3, first 2 shown]
	v_add_f64_e32 v[167:168], v[42:43], v[26:27]
	v_add_f64_e32 v[163:164], v[44:45], v[10:11]
	v_fma_f64 v[173:174], v[135:136], s[14:15], v[203:204]
	v_fma_f64 v[135:136], v[135:136], s[14:15], v[143:144]
	;; [unrolled: 1-line block ×3, first 2 shown]
	v_add_f64_e64 v[177:178], v[48:49], -v[36:37]
	v_fma_f64 v[18:19], v[141:142], s[14:15], v[18:19]
	v_fma_f64 v[141:142], v[153:154], s[6:7], v[4:5]
	;; [unrolled: 1-line block ×6, first 2 shown]
	v_add_f64_e64 v[161:162], v[58:59], -v[52:53]
	v_add_f64_e64 v[183:184], v[34:35], -v[40:41]
	v_fma_f64 v[185:186], v[62:63], s[6:7], v[145:146]
	v_add_f64_e32 v[187:188], v[30:31], v[22:23]
	v_add_f64_e32 v[191:192], v[28:29], v[2:3]
	v_add_f64_e32 v[179:180], v[209:210], v[179:180]
	v_fma_f64 v[145:146], v[62:63], s[2:3], v[145:146]
	v_add_f64_e32 v[94:95], v[94:95], v[52:53]
	v_add_f64_e64 v[52:53], v[52:53], -v[58:59]
	v_add_f64_e64 v[58:59], v[40:41], -v[34:35]
	v_fma_f64 v[189:190], v[175:176], s[2:3], v[12:13]
	v_fma_f64 v[12:13], v[175:176], s[6:7], v[12:13]
	v_add_f64_e64 v[193:194], v[54:55], -v[56:57]
	v_add_f64_e64 v[197:198], v[20:21], -v[50:51]
	;; [unrolled: 1-line block ×4, first 2 shown]
	v_fma_f64 v[74:75], v[153:154], s[10:11], v[74:75]
	v_fma_f64 v[153:154], v[153:154], s[12:13], v[171:172]
	v_fma_f64 v[171:172], v[181:182], -0.5, v[0:1]
	v_add_f64_e64 v[181:182], v[30:31], -v[22:23]
	v_fma_f64 v[131:132], v[131:132], -0.5, v[14:15]
	v_fma_f64 v[207:208], v[165:166], s[6:7], v[169:170]
	v_fma_f64 v[169:170], v[165:166], s[2:3], v[169:170]
	v_add_f64_e32 v[6:7], v[6:7], v[56:57]
	v_add_f64_e64 v[209:210], v[28:29], -v[2:3]
	v_fma_f64 v[199:200], v[159:160], s[2:3], v[98:99]
	v_fma_f64 v[167:168], v[167:168], -0.5, v[0:1]
	v_add_f64_e32 v[0:1], v[0:1], v[38:39]
	v_fma_f64 v[98:99], v[159:160], s[6:7], v[98:99]
	v_add_f64_e64 v[205:206], v[50:51], -v[20:21]
	v_fma_f64 v[163:164], v[163:164], -0.5, v[14:15]
	v_add_f64_e32 v[14:15], v[14:15], v[44:45]
	v_add_f64_e64 v[56:57], v[56:57], -v[50:51]
	v_add_f64_e32 v[105:106], v[105:106], v[177:178]
	v_fma_f64 v[141:142], v[149:150], s[10:11], v[141:142]
	v_fma_f64 v[4:5], v[149:150], s[12:13], v[4:5]
	v_add_f64_e32 v[48:49], v[66:67], v[48:49]
	v_add_f64_e32 v[149:150], v[8:9], v[28:29]
	v_add_f64_e64 v[177:178], v[38:39], -v[16:17]
	v_add_f64_e32 v[161:162], v[161:162], v[183:184]
	v_fma_f64 v[183:184], v[175:176], s[12:13], v[185:186]
	v_fma_f64 v[66:67], v[187:188], -0.5, v[8:9]
	v_fma_f64 v[8:9], v[191:192], -0.5, v[8:9]
	v_add_f64_e64 v[185:186], v[42:43], -v[26:27]
	v_fma_f64 v[145:146], v[175:176], s[10:11], v[145:146]
	v_add_f64_e64 v[191:192], v[16:17], -v[26:27]
	v_add_f64_e32 v[40:41], v[94:95], v[40:41]
	v_add_f64_e32 v[52:53], v[52:53], v[58:59]
	v_fma_f64 v[58:59], v[62:63], s[12:13], v[189:190]
	v_fma_f64 v[12:13], v[62:63], s[10:11], v[12:13]
	v_add_f64_e64 v[189:190], v[38:39], -v[42:43]
	v_add_f64_e32 v[62:63], v[193:194], v[197:198]
	v_add_f64_e64 v[38:39], v[42:43], -v[38:39]
	v_add_f64_e64 v[193:194], v[26:27], -v[16:17]
	v_fma_f64 v[76:77], v[195:196], s[14:15], v[76:77]
	v_fma_f64 v[139:140], v[201:202], s[14:15], v[139:140]
	;; [unrolled: 1-line block ×7, first 2 shown]
	v_add_f64_e32 v[6:7], v[6:7], v[50:51]
	v_add_f64_e64 v[50:51], v[44:45], -v[46:47]
	v_add_f64_e64 v[169:170], v[10:11], -v[24:25]
	v_fma_f64 v[131:132], v[54:55], s[2:3], v[131:132]
	v_add_f64_e32 v[0:1], v[0:1], v[42:43]
	v_fma_f64 v[42:43], v[181:182], s[6:7], v[171:172]
	v_fma_f64 v[197:198], v[209:210], s[2:3], v[167:168]
	;; [unrolled: 1-line block ×6, first 2 shown]
	v_add_f64_e32 v[165:166], v[203:204], v[205:206]
	v_add_f64_e32 v[14:15], v[14:15], v[46:47]
	v_add_f64_e64 v[44:45], v[46:47], -v[44:45]
	v_fma_f64 v[46:47], v[56:57], s[2:3], v[163:164]
	v_add_f64_e64 v[199:200], v[24:25], -v[10:11]
	v_fma_f64 v[163:164], v[56:57], s[6:7], v[163:164]
	v_add_f64_e64 v[203:204], v[28:29], -v[30:31]
	v_add_f64_e64 v[205:206], v[2:3], -v[22:23]
	v_add_f64_e32 v[149:150], v[149:150], v[30:31]
	v_fma_f64 v[207:208], v[177:178], s[6:7], v[66:67]
	v_fma_f64 v[66:67], v[177:178], s[2:3], v[66:67]
	v_add_f64_e64 v[28:29], v[30:31], -v[28:29]
	v_add_f64_e64 v[30:31], v[22:23], -v[2:3]
	v_fma_f64 v[211:212], v[185:186], s[2:3], v[8:9]
	v_fma_f64 v[8:9], v[185:186], s[6:7], v[8:9]
	;; [unrolled: 1-line block ×3, first 2 shown]
	global_wb scope:SCOPE_SE
	s_barrier_signal -1
	s_barrier_wait -1
	v_add_f64_e32 v[38:39], v[38:39], v[193:194]
	global_inv scope:SCOPE_SE
	ds_store_2addr_b64 v109, v[90:91], v[60:61] offset1:5
	ds_store_2addr_b64 v109, v[107:108], v[143:144] offset0:10 offset1:15
	ds_store_2addr_b64 v109, v[100:101], v[129:130] offset0:20 offset1:25
	;; [unrolled: 1-line block ×4, first 2 shown]
	v_lshl_add_u32 v61, v117, 3, v115
	v_lshl_add_u32 v60, v126, 3, v115
	v_fma_f64 v[118:119], v[137:138], s[14:15], v[118:119]
	v_fma_f64 v[78:79], v[137:138], s[14:15], v[78:79]
	;; [unrolled: 1-line block ×3, first 2 shown]
	v_add_f64_e32 v[6:7], v[6:7], v[20:21]
	v_fma_f64 v[58:59], v[52:53], s[14:15], v[58:59]
	v_add_f64_e32 v[50:51], v[50:51], v[169:170]
	v_fma_f64 v[169:170], v[56:57], s[12:13], v[187:188]
	v_fma_f64 v[56:57], v[56:57], s[10:11], v[131:132]
	v_add_f64_e32 v[131:132], v[189:190], v[191:192]
	v_add_f64_e32 v[0:1], v[0:1], v[26:27]
	v_fma_f64 v[26:27], v[209:210], s[10:11], v[42:43]
	v_fma_f64 v[42:43], v[181:182], s[10:11], v[197:198]
	;; [unrolled: 1-line block ×5, first 2 shown]
	v_add_f64_e32 v[14:15], v[14:15], v[24:25]
	v_fma_f64 v[62:63], v[62:63], s[14:15], v[98:99]
	v_fma_f64 v[94:95], v[52:53], s[14:15], v[12:13]
	v_add_f64_e32 v[24:25], v[44:45], v[199:200]
	v_fma_f64 v[44:45], v[54:55], s[12:13], v[46:47]
	v_fma_f64 v[46:47], v[54:55], s[10:11], v[163:164]
	v_add_f64_e32 v[54:55], v[203:204], v[205:206]
	v_add_f64_e32 v[22:23], v[149:150], v[22:23]
	v_fma_f64 v[163:164], v[185:186], s[12:13], v[207:208]
	v_fma_f64 v[66:67], v[185:186], s[10:11], v[66:67]
	v_add_f64_e32 v[149:150], v[151:152], v[32:33]
	;; [unrolled: 4-line block ×3, first 2 shown]
	v_fma_f64 v[36:37], v[102:103], s[14:15], v[74:75]
	v_fma_f64 v[48:49], v[102:103], s[14:15], v[153:154]
	v_add_f64_e32 v[102:103], v[40:41], v[34:35]
	v_fma_f64 v[34:35], v[165:166], s[14:15], v[175:176]
	v_fma_f64 v[40:41], v[165:166], s[14:15], v[159:160]
	;; [unrolled: 1-line block ×3, first 2 shown]
	ds_store_b64 v109, v[68:69] offset:400
	ds_store_b64 v109, v[76:77] offset:480
	ds_store_b64 v109, v[139:140] offset:560
	ds_store_b64 v60, v[84:85]
	ds_store_2addr_b64 v109, v[74:75], v[4:5] offset0:75 offset1:85
	ds_store_2addr_b64 v109, v[82:83], v[48:49] offset0:90 offset1:95
	;; [unrolled: 1-line block ×3, first 2 shown]
	v_add_f64_e32 v[0:1], v[0:1], v[16:17]
	v_fma_f64 v[16:17], v[38:39], s[14:15], v[26:27]
	v_fma_f64 v[26:27], v[131:132], s[14:15], v[42:43]
	;; [unrolled: 1-line block ×4, first 2 shown]
	v_lshl_add_u32 v68, v116, 3, v115
	v_fma_f64 v[151:152], v[179:180], s[14:15], v[157:158]
	v_fma_f64 v[105:106], v[161:162], s[14:15], v[183:184]
	v_add_f64_e32 v[98:99], v[14:15], v[10:11]
	v_fma_f64 v[131:132], v[50:51], s[14:15], v[169:170]
	v_fma_f64 v[56:57], v[50:51], s[14:15], v[56:57]
	v_fma_f64 v[141:142], v[24:25], s[14:15], v[44:45]
	v_fma_f64 v[145:146], v[24:25], s[14:15], v[46:47]
	v_add_f64_e32 v[153:154], v[22:23], v[2:3]
	v_fma_f64 v[157:158], v[54:55], s[14:15], v[163:164]
	v_fma_f64 v[66:67], v[54:55], s[14:15], v[66:67]
	;; [unrolled: 1-line block ×4, first 2 shown]
	ds_store_2addr_b64 v61, v[34:35], v[40:41] offset0:120 offset1:130
	ds_store_b64 v109, v[32:33] offset:440
	ds_store_b64 v109, v[36:37] offset:520
	;; [unrolled: 1-line block ×3, first 2 shown]
	ds_store_2addr_b64 v68, v[0:1], v[26:27] offset0:100 offset1:110
	ds_store_2addr_b64 v68, v[16:17], v[38:39] offset0:120 offset1:130
	ds_store_b64 v68, v[42:43] offset:1120
	global_wb scope:SCOPE_SE
	s_wait_dscnt 0x0
	s_barrier_signal -1
	s_barrier_wait -1
	global_inv scope:SCOPE_SE
	ds_load_2addr_b64 v[16:19], v109 offset0:50 offset1:55
	ds_load_2addr_b64 v[20:23], v109 offset0:100 offset1:105
	;; [unrolled: 1-line block ×12, first 2 shown]
	ds_load_b64 v[74:75], v110
	ds_load_b64 v[72:73], v111
	ds_load_2addr_b64 v[52:55], v109 offset0:90 offset1:95
	ds_load_2addr_b64 v[48:51], v109 offset0:140 offset1:145
	v_fma_f64 v[88:89], v[179:180], s[14:15], v[88:89]
	global_wb scope:SCOPE_SE
	s_wait_dscnt 0x0
	s_barrier_signal -1
	s_barrier_wait -1
	global_inv scope:SCOPE_SE
	ds_store_2addr_b64 v109, v[133:134], v[64:65] offset1:5
	ds_store_2addr_b64 v109, v[127:128], v[147:148] offset0:10 offset1:15
	ds_store_2addr_b64 v109, v[173:174], v[155:156] offset0:20 offset1:25
	;; [unrolled: 1-line block ×4, first 2 shown]
	ds_store_b64 v109, v[149:150] offset:400
	ds_store_b64 v109, v[151:152] offset:480
	;; [unrolled: 1-line block ×3, first 2 shown]
	ds_store_b64 v60, v[78:79]
	ds_store_2addr_b64 v109, v[58:59], v[94:95] offset0:75 offset1:85
	ds_store_2addr_b64 v109, v[88:89], v[137:138] offset0:90 offset1:95
	;; [unrolled: 1-line block ×4, first 2 shown]
	ds_store_b64 v109, v[102:103] offset:440
	ds_store_b64 v109, v[105:106] offset:520
	;; [unrolled: 1-line block ×3, first 2 shown]
	ds_store_2addr_b64 v68, v[153:154], v[157:158] offset0:100 offset1:110
	ds_store_2addr_b64 v68, v[159:160], v[161:162] offset0:120 offset1:130
	ds_store_b64 v68, v[66:67] offset:1120
	global_wb scope:SCOPE_SE
	s_wait_dscnt 0x0
	s_barrier_signal -1
	s_barrier_wait -1
	global_inv scope:SCOPE_SE
	s_and_saveexec_b32 s0, vcc_lo
	s_cbranch_execz .LBB0_14
; %bb.13:
	v_add_nc_u32_e32 v76, 45, v120
	v_dual_mov_b32 v121, v104 :: v_dual_lshlrev_b32 v102, 1, v120
	v_add_nc_u32_e32 v77, 30, v120
	s_mov_b32 s0, 0xe8584caa
	s_delay_alu instid0(VALU_DEP_3)
	v_lshlrev_b32_e32 v103, 1, v76
	s_mov_b32 s1, 0x3febb67a
	s_mov_b32 s3, 0xbfebb67a
	s_wait_alu 0xfffe
	s_mov_b32 s2, s0
	v_lshlrev_b64_e32 v[56:57], 4, v[103:104]
	v_lshlrev_b32_e32 v103, 1, v125
	s_delay_alu instid0(VALU_DEP_1) | instskip(NEXT) | instid1(VALU_DEP_3)
	v_lshlrev_b64_e32 v[58:59], 4, v[103:104]
	v_add_co_u32 v56, vcc_lo, s4, v56
	s_wait_alu 0xfffd
	s_delay_alu instid0(VALU_DEP_4) | instskip(SKIP_1) | instid1(VALU_DEP_4)
	v_add_co_ci_u32_e32 v57, vcc_lo, s5, v57, vcc_lo
	v_add_nc_u32_e32 v103, 0x46, v102
	v_add_co_u32 v58, vcc_lo, s4, v58
	s_wait_alu 0xfffd
	v_add_co_ci_u32_e32 v59, vcc_lo, s5, v59, vcc_lo
	s_delay_alu instid0(VALU_DEP_3)
	v_lshlrev_b64_e32 v[78:79], 4, v[103:104]
	s_clause 0x2
	global_load_b128 v[64:67], v[56:57], off offset:640
	global_load_b128 v[60:63], v[58:59], off offset:640
	;; [unrolled: 1-line block ×3, first 2 shown]
	v_lshlrev_b32_e32 v103, 1, v77
	v_add_co_u32 v94, vcc_lo, s4, v78
	s_wait_alu 0xfffd
	v_add_co_ci_u32_e32 v95, vcc_lo, s5, v79, vcc_lo
	s_delay_alu instid0(VALU_DEP_3)
	v_lshlrev_b64_e32 v[82:83], 4, v[103:104]
	v_mov_b32_e32 v103, v104
	v_mul_hi_u32 v76, 0x51eb851f, v76
	s_clause 0x1
	global_load_b128 v[78:81], v[94:95], off offset:640
	global_load_b128 v[56:59], v[58:59], off offset:656
	v_lshlrev_b64_e32 v[86:87], 4, v[102:103]
	v_add_co_u32 v98, vcc_lo, s4, v82
	s_wait_alu 0xfffd
	v_add_co_ci_u32_e32 v99, vcc_lo, s5, v83, vcc_lo
	v_lshlrev_b32_e32 v103, 1, v113
	s_delay_alu instid0(VALU_DEP_4)
	v_add_co_u32 v90, vcc_lo, s4, v86
	global_load_b128 v[82:85], v[98:99], off offset:640
	s_wait_alu 0xfffd
	v_add_co_ci_u32_e32 v91, vcc_lo, s5, v87, vcc_lo
	s_clause 0x3
	global_load_b128 v[86:89], v[90:91], off offset:640
	global_load_b128 v[90:93], v[90:91], off offset:656
	;; [unrolled: 1-line block ×4, first 2 shown]
	v_lshlrev_b64_e32 v[105:106], 4, v[103:104]
	v_lshlrev_b32_e32 v103, 1, v114
	s_delay_alu instid0(VALU_DEP_1) | instskip(SKIP_1) | instid1(VALU_DEP_4)
	v_lshlrev_b64_e32 v[118:119], 4, v[103:104]
	v_add_nc_u32_e32 v103, 30, v102
	v_add_co_u32 v114, vcc_lo, s4, v105
	s_wait_alu 0xfffd
	v_add_co_ci_u32_e32 v115, vcc_lo, s5, v106, vcc_lo
	s_delay_alu instid0(VALU_DEP_3) | instskip(SKIP_4) | instid1(VALU_DEP_3)
	v_lshlrev_b64_e32 v[124:125], 4, v[103:104]
	v_add_nc_u32_e32 v103, 20, v102
	v_add_co_u32 v118, vcc_lo, s4, v118
	s_wait_alu 0xfffd
	v_add_co_ci_u32_e32 v119, vcc_lo, s5, v119, vcc_lo
	v_lshlrev_b64_e32 v[140:141], 4, v[103:104]
	v_lshlrev_b32_e32 v103, 1, v112
	v_add_co_u32 v136, vcc_lo, s4, v124
	s_wait_alu 0xfffd
	v_add_co_ci_u32_e32 v137, vcc_lo, s5, v125, vcc_lo
	s_delay_alu instid0(VALU_DEP_3)
	v_lshlrev_b64_e32 v[102:103], 4, v[103:104]
	s_clause 0x5
	global_load_b128 v[105:108], v[114:115], off offset:656
	global_load_b128 v[114:117], v[114:115], off offset:640
	;; [unrolled: 1-line block ×6, first 2 shown]
	v_add_co_u32 v118, vcc_lo, s4, v140
	s_wait_alu 0xfffd
	v_add_co_ci_u32_e32 v119, vcc_lo, s5, v141, vcc_lo
	v_add_co_u32 v102, vcc_lo, s4, v102
	s_wait_alu 0xfffd
	v_add_co_ci_u32_e32 v103, vcc_lo, s5, v103, vcc_lo
	s_clause 0x3
	global_load_b128 v[140:143], v[118:119], off offset:640
	global_load_b128 v[144:147], v[118:119], off offset:656
	;; [unrolled: 1-line block ×4, first 2 shown]
	ds_load_2addr_b64 v[156:159], v109 offset0:90 offset1:95
	ds_load_2addr_b64 v[160:163], v109 offset0:140 offset1:145
	;; [unrolled: 1-line block ×9, first 2 shown]
	s_wait_loadcnt_dscnt 0x1308
	v_mul_f64_e32 v[102:103], v[158:159], v[66:67]
	v_mul_f64_e32 v[66:67], v[54:55], v[66:67]
	s_wait_loadcnt_dscnt 0x1107
	v_mul_f64_e32 v[194:195], v[162:163], v[70:71]
	v_mul_f64_e32 v[70:71], v[50:51], v[70:71]
	;; [unrolled: 1-line block ×4, first 2 shown]
	s_wait_loadcnt_dscnt 0x1006
	v_mul_f64_e32 v[200:201], v[166:167], v[80:81]
	s_wait_loadcnt 0xf
	v_mul_f64_e32 v[196:197], v[160:161], v[58:59]
	v_mul_f64_e32 v[198:199], v[48:49], v[58:59]
	;; [unrolled: 1-line block ×3, first 2 shown]
	v_add_co_u32 v58, vcc_lo, s8, v122
	s_wait_alu 0xfffd
	v_add_co_ci_u32_e32 v59, vcc_lo, s9, v123, vcc_lo
	s_wait_loadcnt 0xe
	v_mul_f64_e32 v[122:123], v[164:165], v[84:85]
	v_mul_f64_e32 v[84:85], v[44:45], v[84:85]
	s_wait_loadcnt_dscnt 0xb03
	v_mul_f64_e32 v[204:205], v[178:179], v[96:97]
	v_mul_f64_e32 v[96:97], v[42:43], v[96:97]
	v_fma_f64 v[202:203], v[54:55], v[64:65], -v[102:103]
	v_fma_f64 v[66:67], v[64:65], v[158:159], v[66:67]
	v_lshlrev_b64_e32 v[54:55], 4, v[120:121]
	v_mul_f64_e32 v[120:121], v[172:173], v[88:89]
	v_mul_f64_e32 v[88:89], v[16:17], v[88:89]
	s_wait_dscnt 0x2
	v_mul_f64_e32 v[158:159], v[180:181], v[92:93]
	v_mul_f64_e32 v[92:93], v[20:21], v[92:93]
	v_fma_f64 v[194:195], v[50:51], v[68:69], -v[194:195]
	v_fma_f64 v[68:69], v[68:69], v[162:163], v[70:71]
	s_wait_loadcnt 0xa
	v_mul_f64_e32 v[70:71], v[176:177], v[100:101]
	v_mul_f64_e32 v[100:101], v[40:41], v[100:101]
	ds_load_2addr_b64 v[62:65], v109 offset0:120 offset1:125
	v_fma_f64 v[156:157], v[60:61], v[156:157], v[192:193]
	v_add_co_u32 v192, vcc_lo, v58, v54
	v_fma_f64 v[118:119], v[52:53], v[60:61], -v[118:119]
	s_wait_alu 0xfffd
	v_add_co_ci_u32_e32 v193, vcc_lo, v59, v55, vcc_lo
	v_mul_hi_u32 v102, 0x51eb851f, v113
	v_fma_f64 v[48:49], v[48:49], v[56:57], -v[196:197]
	ds_load_2addr_b64 v[58:61], v109 offset0:60 offset1:65
	v_fma_f64 v[112:113], v[56:57], v[160:161], v[198:199]
	ds_load_2addr_b64 v[54:57], v109 offset0:110 offset1:115
	v_mul_hi_u32 v103, 0x51eb851f, v77
	s_wait_loadcnt_dscnt 0x803
	v_mul_f64_e32 v[160:161], v[190:191], v[116:117]
	v_fma_f64 v[46:47], v[46:47], v[78:79], -v[200:201]
	v_fma_f64 v[77:78], v[78:79], v[166:167], v[80:81]
	v_mul_f64_e32 v[79:80], v[34:35], v[116:117]
	v_fma_f64 v[44:45], v[44:45], v[82:83], -v[122:123]
	s_wait_loadcnt 0x7
	v_mul_f64_e32 v[122:123], v[188:189], v[126:127]
	v_fma_f64 v[81:82], v[82:83], v[164:165], v[84:85]
	s_wait_dscnt 0x2
	v_mul_f64_e32 v[116:117], v[64:65], v[107:108]
	v_mul_f64_e32 v[107:108], v[38:39], v[107:108]
	s_wait_loadcnt 0x6
	v_mul_f64_e32 v[83:84], v[62:63], v[130:131]
	v_mul_f64_e32 v[126:127], v[32:33], v[126:127]
	;; [unrolled: 1-line block ×3, first 2 shown]
	v_lshrrev_b32_e32 v102, 4, v102
	v_lshrrev_b32_e32 v166, 4, v103
	ds_load_2addr_b64 v[50:53], v109 offset0:15 offset1:20
	ds_load_b64 v[164:165], v111
	ds_load_b64 v[110:111], v110
	s_wait_loadcnt_dscnt 0x404
	v_mul_f64_e32 v[162:163], v[60:61], v[138:139]
	v_fma_f64 v[16:17], v[16:17], v[86:87], -v[120:121]
	v_fma_f64 v[85:86], v[86:87], v[172:173], v[88:89]
	s_wait_dscnt 0x3
	v_mul_f64_e32 v[87:88], v[56:57], v[134:135]
	v_mul_f64_e32 v[120:121], v[26:27], v[138:139]
	v_fma_f64 v[20:21], v[20:21], v[90:91], -v[158:159]
	v_fma_f64 v[89:90], v[90:91], v[180:181], v[92:93]
	v_mul_f64_e32 v[91:92], v[30:31], v[134:135]
	s_wait_loadcnt 0x3
	v_mul_f64_e32 v[138:139], v[58:59], v[142:143]
	v_fma_f64 v[158:159], v[42:43], v[94:95], -v[204:205]
	v_fma_f64 v[93:94], v[94:95], v[178:179], v[96:97]
	s_wait_loadcnt 0x2
	v_mul_f64_e32 v[95:96], v[54:55], v[146:147]
	v_mul_f64_e32 v[142:143], v[24:25], v[142:143]
	;; [unrolled: 1-line block ×3, first 2 shown]
	v_mul_u32_u24_e32 v103, 0x64, v102
	v_fma_f64 v[70:71], v[40:41], v[98:99], -v[70:71]
	v_fma_f64 v[97:98], v[98:99], v[176:177], v[100:101]
	s_wait_loadcnt 0x1
	v_mul_f64_e32 v[99:100], v[18:19], v[150:151]
	s_wait_loadcnt 0x0
	v_mul_f64_e32 v[101:102], v[22:23], v[154:155]
	v_mul_f64_e32 v[150:151], v[174:175], v[150:151]
	;; [unrolled: 1-line block ×3, first 2 shown]
	v_lshlrev_b64_e32 v[134:135], 4, v[103:104]
	v_fma_f64 v[34:35], v[34:35], v[114:115], -v[160:161]
	v_mul_u32_u24_e32 v103, 0x64, v166
	v_lshrrev_b32_e32 v40, 4, v76
	v_fma_f64 v[79:80], v[114:115], v[190:191], v[79:80]
	v_fma_f64 v[32:33], v[32:33], v[124:125], -v[122:123]
	s_delay_alu instid0(VALU_DEP_4)
	v_lshlrev_b64_e32 v[160:161], 4, v[103:104]
	v_fma_f64 v[38:39], v[38:39], v[105:106], -v[116:117]
	v_fma_f64 v[64:65], v[105:106], v[64:65], v[107:108]
	v_fma_f64 v[36:37], v[36:37], v[128:129], -v[83:84]
	v_fma_f64 v[83:84], v[124:125], v[188:189], v[126:127]
	v_fma_f64 v[62:63], v[128:129], v[62:63], v[130:131]
	v_mul_u32_u24_e32 v103, 0x64, v40
	v_add_f64_e32 v[107:108], v[66:67], v[170:171]
	v_add_f64_e64 v[124:125], v[66:67], -v[68:69]
	v_add_f64_e32 v[128:129], v[156:157], v[112:113]
	v_fma_f64 v[26:27], v[26:27], v[136:137], -v[162:163]
	v_lshlrev_b64_e32 v[166:167], 4, v[103:104]
	s_wait_dscnt 0x0
	v_add_f64_e32 v[103:104], v[85:86], v[110:111]
	v_fma_f64 v[87:88], v[30:31], v[132:133], -v[87:88]
	v_fma_f64 v[30:31], v[136:137], v[60:61], v[120:121]
	v_add_f64_e64 v[60:61], v[16:17], -v[20:21]
	v_add_f64_e32 v[105:106], v[16:17], v[20:21]
	v_fma_f64 v[56:57], v[132:133], v[56:57], v[91:92]
	v_fma_f64 v[24:25], v[24:25], v[140:141], -v[138:139]
	v_add_f64_e32 v[91:92], v[85:86], v[89:90]
	v_add_f64_e32 v[16:17], v[74:75], v[16:17]
	v_fma_f64 v[95:96], v[28:29], v[144:145], -v[95:96]
	v_fma_f64 v[28:29], v[140:141], v[58:59], v[142:143]
	v_fma_f64 v[54:55], v[144:145], v[54:55], v[146:147]
	v_add_f64_e32 v[58:59], v[66:67], v[68:69]
	v_add_f64_e32 v[66:67], v[10:11], v[202:203]
	;; [unrolled: 1-line block ×3, first 2 shown]
	v_fma_f64 v[99:100], v[148:149], v[174:175], v[99:100]
	v_fma_f64 v[101:102], v[152:153], v[182:183], v[101:102]
	v_fma_f64 v[114:115], v[18:19], v[148:149], -v[150:151]
	v_fma_f64 v[116:117], v[22:23], v[152:153], -v[154:155]
	v_add_f64_e32 v[142:143], v[77:78], v[168:169]
	v_add_f64_e64 v[146:147], v[77:78], -v[93:94]
	v_add_f64_e32 v[76:77], v[81:82], v[97:98]
	v_add_f64_e32 v[150:151], v[81:82], v[186:187]
	v_add_f64_e64 v[154:155], v[81:82], -v[97:98]
	v_add_f64_e32 v[122:123], v[202:203], v[194:195]
	;; [unrolled: 3-line block ×3, first 2 shown]
	v_add_f64_e32 v[81:82], v[79:80], v[64:65]
	v_add_f64_e32 v[176:177], v[32:33], v[36:37]
	v_add_f64_e64 v[178:179], v[79:80], -v[64:65]
	v_add_f64_e32 v[172:173], v[83:84], v[62:63]
	v_add_f64_e32 v[130:131], v[156:157], v[164:165]
	;; [unrolled: 1-line block ×4, first 2 shown]
	ds_load_2addr_b64 v[40:43], v109 offset0:5 offset1:10
	v_add_f64_e32 v[144:145], v[46:47], v[158:159]
	v_add_f64_e32 v[152:153], v[44:45], v[70:71]
	v_add_f64_e64 v[138:139], v[46:47], -v[158:159]
	v_add_f64_e32 v[180:181], v[26:27], v[87:88]
	v_add_f64_e32 v[46:47], v[8:9], v[46:47]
	v_add_f64_e64 v[148:149], v[44:45], -v[70:71]
	v_add_f64_e32 v[44:45], v[6:7], v[44:45]
	v_add_f64_e32 v[78:79], v[30:31], v[56:57]
	;; [unrolled: 1-line block ×3, first 2 shown]
	v_fma_f64 v[91:92], v[91:92], -0.5, v[110:111]
	v_add_f64_e32 v[109:110], v[2:3], v[24:25]
	v_add_f64_e32 v[196:197], v[24:25], v[95:96]
	v_add_f64_e64 v[136:137], v[156:157], -v[112:113]
	v_add_f64_e32 v[188:189], v[28:29], v[54:55]
	v_add_f64_e64 v[156:157], v[34:35], -v[38:39]
	;; [unrolled: 2-line block ×3, first 2 shown]
	v_add_f64_e32 v[32:33], v[14:15], v[32:33]
	v_add_f64_e32 v[198:199], v[99:100], v[101:102]
	s_wait_dscnt 0x0
	v_add_f64_e32 v[103:104], v[28:29], v[42:43]
	v_add_f64_e32 v[200:201], v[114:115], v[116:117]
	;; [unrolled: 1-line block ×5, first 2 shown]
	v_fma_f64 v[170:171], v[58:59], -0.5, v[170:171]
	v_add_f64_e32 v[20:21], v[66:67], v[194:195]
	v_add_f64_e32 v[58:59], v[99:100], v[40:41]
	;; [unrolled: 1-line block ×4, first 2 shown]
	v_add_f64_e64 v[107:108], v[114:115], -v[116:117]
	v_fma_f64 v[114:115], v[128:129], -0.5, v[164:165]
	v_fma_f64 v[128:129], v[81:82], -0.5, v[184:185]
	;; [unrolled: 1-line block ×3, first 2 shown]
	v_add_f64_e64 v[85:86], v[85:86], -v[89:90]
	v_fma_f64 v[74:75], v[105:106], -0.5, v[74:75]
	v_add_f64_e32 v[190:191], v[83:84], v[52:53]
	v_add_f64_e64 v[83:84], v[83:84], -v[62:63]
	v_fma_f64 v[10:11], v[122:123], -0.5, v[10:11]
	v_fma_f64 v[122:123], v[76:77], -0.5, v[186:187]
	;; [unrolled: 1-line block ×4, first 2 shown]
	v_add_f64_e64 v[120:121], v[202:203], -v[194:195]
	v_add_f64_e64 v[202:203], v[26:27], -v[87:88]
	;; [unrolled: 1-line block ×4, first 2 shown]
	v_fma_f64 v[80:81], v[78:79], -0.5, v[50:51]
	v_fma_f64 v[99:100], v[180:181], -0.5, v[12:13]
	v_add_f64_e64 v[89:90], v[24:25], -v[95:96]
	v_add_f64_e64 v[105:106], v[28:29], -v[54:55]
	v_add_f64_e32 v[14:15], v[112:113], v[130:131]
	v_add_f64_e32 v[12:13], v[118:119], v[48:49]
	v_fma_f64 v[48:49], v[188:189], -0.5, v[42:43]
	v_fma_f64 v[111:112], v[196:197], -0.5, v[2:3]
	;; [unrolled: 1-line block ×4, first 2 shown]
	v_add_f64_e32 v[2:3], v[93:94], v[142:143]
	v_fma_f64 v[132:133], v[198:199], -0.5, v[40:41]
	v_fma_f64 v[142:143], v[144:145], -0.5, v[8:9]
	;; [unrolled: 1-line block ×4, first 2 shown]
	v_add_f64_e32 v[0:1], v[46:47], v[158:159]
	v_add_f64_e32 v[6:7], v[44:45], v[70:71]
	v_add_f64_e32 v[46:47], v[54:55], v[103:104]
	v_add_f64_e32 v[44:45], v[109:110], v[95:96]
	v_add_f64_e32 v[24:25], v[34:35], v[38:39]
	v_add_f64_e32 v[28:29], v[32:33], v[36:37]
	v_add_f64_e32 v[34:35], v[56:57], v[204:205]
	v_add_f64_e32 v[32:33], v[208:209], v[87:88]
	v_add_f64_e32 v[54:55], v[101:102], v[58:59]
	v_add_f64_e32 v[52:53], v[66:67], v[116:117]
	v_add_f64_e32 v[26:27], v[64:65], v[174:175]
	v_fma_f64 v[66:67], v[156:157], s[0:1], v[128:129]
	s_wait_alu 0xfffe
	v_fma_f64 v[64:65], v[178:179], s[2:3], v[4:5]
	v_fma_f64 v[38:39], v[60:61], s[0:1], v[91:92]
	v_fma_f64 v[36:37], v[85:86], s[2:3], v[74:75]
	v_fma_f64 v[40:41], v[85:86], s[0:1], v[74:75]
	v_fma_f64 v[42:43], v[60:61], s[2:3], v[91:92]
	v_fma_f64 v[74:75], v[182:183], s[2:3], v[68:69]
	v_fma_f64 v[72:73], v[83:84], s[0:1], v[76:77]
	v_fma_f64 v[70:71], v[182:183], s[0:1], v[68:69]
	v_fma_f64 v[68:69], v[83:84], s[2:3], v[76:77]
	v_add_f64_e32 v[8:9], v[97:98], v[150:151]
	v_fma_f64 v[102:103], v[156:157], s[2:3], v[128:129]
	v_fma_f64 v[78:79], v[202:203], s[0:1], v[80:81]
	;; [unrolled: 1-line block ×6, first 2 shown]
	v_add_f64_e32 v[30:31], v[62:63], v[190:191]
	v_fma_f64 v[86:87], v[89:90], s[0:1], v[48:49]
	v_fma_f64 v[90:91], v[89:90], s[2:3], v[48:49]
	;; [unrolled: 1-line block ×24, first 2 shown]
	v_add_co_u32 v134, vcc_lo, v192, v134
	s_wait_alu 0xfffd
	v_add_co_ci_u32_e32 v135, vcc_lo, v193, v135, vcc_lo
	v_add_co_u32 v4, vcc_lo, v192, v160
	s_wait_alu 0xfffd
	v_add_co_ci_u32_e32 v5, vcc_lo, v193, v161, vcc_lo
	;; [unrolled: 3-line block ×3, first 2 shown]
	s_clause 0x1d
	global_store_b128 v[192:193], v[44:47], off offset:160
	global_store_b128 v[192:193], v[32:35], off offset:240
	global_store_b128 v[192:193], v[16:19], off
	global_store_b128 v[192:193], v[52:55], off offset:80
	global_store_b128 v[134:135], v[64:67], off offset:2000
	;; [unrolled: 1-line block ×27, first 2 shown]
.LBB0_14:
	s_nop 0
	s_sendmsg sendmsg(MSG_DEALLOC_VGPRS)
	s_endpgm
	.section	.rodata,"a",@progbits
	.p2align	6, 0x0
	.amdhsa_kernel fft_rtc_fwd_len150_factors_10_5_3_wgs_60_tpt_5_halfLds_dp_ip_CI_unitstride_sbrr_dirReg
		.amdhsa_group_segment_fixed_size 0
		.amdhsa_private_segment_fixed_size 0
		.amdhsa_kernarg_size 88
		.amdhsa_user_sgpr_count 2
		.amdhsa_user_sgpr_dispatch_ptr 0
		.amdhsa_user_sgpr_queue_ptr 0
		.amdhsa_user_sgpr_kernarg_segment_ptr 1
		.amdhsa_user_sgpr_dispatch_id 0
		.amdhsa_user_sgpr_private_segment_size 0
		.amdhsa_wavefront_size32 1
		.amdhsa_uses_dynamic_stack 0
		.amdhsa_enable_private_segment 0
		.amdhsa_system_sgpr_workgroup_id_x 1
		.amdhsa_system_sgpr_workgroup_id_y 0
		.amdhsa_system_sgpr_workgroup_id_z 0
		.amdhsa_system_sgpr_workgroup_info 0
		.amdhsa_system_vgpr_workitem_id 0
		.amdhsa_next_free_vgpr 227
		.amdhsa_next_free_sgpr 32
		.amdhsa_reserve_vcc 1
		.amdhsa_float_round_mode_32 0
		.amdhsa_float_round_mode_16_64 0
		.amdhsa_float_denorm_mode_32 3
		.amdhsa_float_denorm_mode_16_64 3
		.amdhsa_fp16_overflow 0
		.amdhsa_workgroup_processor_mode 1
		.amdhsa_memory_ordered 1
		.amdhsa_forward_progress 0
		.amdhsa_round_robin_scheduling 0
		.amdhsa_exception_fp_ieee_invalid_op 0
		.amdhsa_exception_fp_denorm_src 0
		.amdhsa_exception_fp_ieee_div_zero 0
		.amdhsa_exception_fp_ieee_overflow 0
		.amdhsa_exception_fp_ieee_underflow 0
		.amdhsa_exception_fp_ieee_inexact 0
		.amdhsa_exception_int_div_zero 0
	.end_amdhsa_kernel
	.text
.Lfunc_end0:
	.size	fft_rtc_fwd_len150_factors_10_5_3_wgs_60_tpt_5_halfLds_dp_ip_CI_unitstride_sbrr_dirReg, .Lfunc_end0-fft_rtc_fwd_len150_factors_10_5_3_wgs_60_tpt_5_halfLds_dp_ip_CI_unitstride_sbrr_dirReg
                                        ; -- End function
	.section	.AMDGPU.csdata,"",@progbits
; Kernel info:
; codeLenInByte = 12184
; NumSgprs: 34
; NumVgprs: 227
; ScratchSize: 0
; MemoryBound: 1
; FloatMode: 240
; IeeeMode: 1
; LDSByteSize: 0 bytes/workgroup (compile time only)
; SGPRBlocks: 4
; VGPRBlocks: 28
; NumSGPRsForWavesPerEU: 34
; NumVGPRsForWavesPerEU: 227
; Occupancy: 6
; WaveLimiterHint : 1
; COMPUTE_PGM_RSRC2:SCRATCH_EN: 0
; COMPUTE_PGM_RSRC2:USER_SGPR: 2
; COMPUTE_PGM_RSRC2:TRAP_HANDLER: 0
; COMPUTE_PGM_RSRC2:TGID_X_EN: 1
; COMPUTE_PGM_RSRC2:TGID_Y_EN: 0
; COMPUTE_PGM_RSRC2:TGID_Z_EN: 0
; COMPUTE_PGM_RSRC2:TIDIG_COMP_CNT: 0
	.text
	.p2alignl 7, 3214868480
	.fill 96, 4, 3214868480
	.type	__hip_cuid_be3b820b59fbdf4,@object ; @__hip_cuid_be3b820b59fbdf4
	.section	.bss,"aw",@nobits
	.globl	__hip_cuid_be3b820b59fbdf4
__hip_cuid_be3b820b59fbdf4:
	.byte	0                               ; 0x0
	.size	__hip_cuid_be3b820b59fbdf4, 1

	.ident	"AMD clang version 19.0.0git (https://github.com/RadeonOpenCompute/llvm-project roc-6.4.0 25133 c7fe45cf4b819c5991fe208aaa96edf142730f1d)"
	.section	".note.GNU-stack","",@progbits
	.addrsig
	.addrsig_sym __hip_cuid_be3b820b59fbdf4
	.amdgpu_metadata
---
amdhsa.kernels:
  - .args:
      - .actual_access:  read_only
        .address_space:  global
        .offset:         0
        .size:           8
        .value_kind:     global_buffer
      - .offset:         8
        .size:           8
        .value_kind:     by_value
      - .actual_access:  read_only
        .address_space:  global
        .offset:         16
        .size:           8
        .value_kind:     global_buffer
      - .actual_access:  read_only
        .address_space:  global
        .offset:         24
        .size:           8
        .value_kind:     global_buffer
      - .offset:         32
        .size:           8
        .value_kind:     by_value
      - .actual_access:  read_only
        .address_space:  global
        .offset:         40
        .size:           8
        .value_kind:     global_buffer
      - .actual_access:  read_only
        .address_space:  global
        .offset:         48
        .size:           8
        .value_kind:     global_buffer
      - .offset:         56
        .size:           4
        .value_kind:     by_value
      - .actual_access:  read_only
        .address_space:  global
        .offset:         64
        .size:           8
        .value_kind:     global_buffer
      - .actual_access:  read_only
        .address_space:  global
        .offset:         72
        .size:           8
        .value_kind:     global_buffer
      - .address_space:  global
        .offset:         80
        .size:           8
        .value_kind:     global_buffer
    .group_segment_fixed_size: 0
    .kernarg_segment_align: 8
    .kernarg_segment_size: 88
    .language:       OpenCL C
    .language_version:
      - 2
      - 0
    .max_flat_workgroup_size: 60
    .name:           fft_rtc_fwd_len150_factors_10_5_3_wgs_60_tpt_5_halfLds_dp_ip_CI_unitstride_sbrr_dirReg
    .private_segment_fixed_size: 0
    .sgpr_count:     34
    .sgpr_spill_count: 0
    .symbol:         fft_rtc_fwd_len150_factors_10_5_3_wgs_60_tpt_5_halfLds_dp_ip_CI_unitstride_sbrr_dirReg.kd
    .uniform_work_group_size: 1
    .uses_dynamic_stack: false
    .vgpr_count:     227
    .vgpr_spill_count: 0
    .wavefront_size: 32
    .workgroup_processor_mode: 1
amdhsa.target:   amdgcn-amd-amdhsa--gfx1201
amdhsa.version:
  - 1
  - 2
...

	.end_amdgpu_metadata
